;; amdgpu-corpus repo=ROCm/rocFFT kind=compiled arch=gfx1030 opt=O3
	.text
	.amdgcn_target "amdgcn-amd-amdhsa--gfx1030"
	.amdhsa_code_object_version 6
	.protected	bluestein_single_back_len442_dim1_sp_op_CI_CI ; -- Begin function bluestein_single_back_len442_dim1_sp_op_CI_CI
	.globl	bluestein_single_back_len442_dim1_sp_op_CI_CI
	.p2align	8
	.type	bluestein_single_back_len442_dim1_sp_op_CI_CI,@function
bluestein_single_back_len442_dim1_sp_op_CI_CI: ; @bluestein_single_back_len442_dim1_sp_op_CI_CI
; %bb.0:
	s_load_dwordx4 s[0:3], s[4:5], 0x28
	v_mul_u32_u24_e32 v1, 0x788, v0
	v_lshrrev_b32_e32 v1, 16, v1
	v_mad_u64_u32 v[56:57], null, s6, 7, v[1:2]
	v_mov_b32_e32 v57, 0
                                        ; kill: def $vgpr2 killed $sgpr0 killed $exec
	s_waitcnt lgkmcnt(0)
	v_cmp_gt_u64_e32 vcc_lo, s[0:1], v[56:57]
	s_and_saveexec_b32 s0, vcc_lo
	s_cbranch_execz .LBB0_23
; %bb.1:
	v_mul_hi_u32 v2, 0x24924925, v56
	v_mul_lo_u16 v1, v1, 34
	s_clause 0x1
	s_load_dwordx2 s[12:13], s[4:5], 0x0
	s_load_dwordx2 s[14:15], s[4:5], 0x38
	v_sub_nc_u16 v0, v0, v1
	v_sub_nc_u32_e32 v3, v56, v2
	v_and_b32_e32 v93, 0xffff, v0
	v_cmp_gt_u16_e32 vcc_lo, 26, v0
	v_lshrrev_b32_e32 v3, 1, v3
	v_lshlrev_b32_e32 v92, 3, v93
	v_or_b32_e32 v91, 0x1a0, v93
	v_add_nc_u32_e32 v2, v3, v2
	v_lshrrev_b32_e32 v2, 2, v2
	v_mul_lo_u32 v2, v2, 7
	v_sub_nc_u32_e32 v1, v56, v2
	v_mul_u32_u24_e32 v50, 0x1ba, v1
	v_lshlrev_b32_e32 v94, 3, v50
	s_and_saveexec_b32 s1, vcc_lo
	s_cbranch_execz .LBB0_3
; %bb.2:
	s_load_dwordx2 s[6:7], s[4:5], 0x18
	s_waitcnt lgkmcnt(0)
	v_add_co_u32 v22, s0, s12, v92
	v_add_co_ci_u32_e64 v23, null, s13, 0, s0
	v_lshlrev_b32_e32 v26, 3, v91
	v_add_co_u32 v22, s0, 0x800, v22
	v_add_co_ci_u32_e64 v23, s0, 0, v23, s0
	v_add_nc_u32_e32 v55, v94, v92
	v_lshl_add_u32 v73, v93, 3, v94
	v_add_nc_u32_e32 v74, 0x400, v55
	v_add_nc_u32_e32 v75, 0x800, v55
	s_load_dwordx4 s[8:11], s[6:7], 0x0
	s_clause 0xa
	global_load_dwordx2 v[0:1], v92, s[12:13] offset:208
	global_load_dwordx2 v[2:3], v92, s[12:13] offset:416
	;; [unrolled: 1-line block ×9, first 2 shown]
	global_load_dwordx2 v[24:25], v92, s[12:13]
	global_load_dwordx2 v[26:27], v26, s[12:13]
	s_waitcnt lgkmcnt(0)
	v_mad_u64_u32 v[18:19], null, s10, v56, 0
	v_mad_u64_u32 v[20:21], null, s8, v93, 0
	s_mul_i32 s0, s9, 0xd0
	s_mul_hi_u32 s6, s8, 0xd0
	s_mul_i32 s7, s8, 0xd0
	s_add_i32 s6, s6, s0
	v_mad_u64_u32 v[28:29], null, s11, v56, v[19:20]
	v_mad_u64_u32 v[29:30], null, s8, v91, 0
	;; [unrolled: 1-line block ×3, first 2 shown]
	s_clause 0x3
	global_load_dwordx2 v[32:33], v[22:23], off offset:32
	global_load_dwordx2 v[34:35], v[22:23], off offset:240
	;; [unrolled: 1-line block ×4, first 2 shown]
	v_mov_b32_e32 v19, v28
	v_mov_b32_e32 v28, v30
	v_mov_b32_e32 v21, v31
	v_lshlrev_b64 v[18:19], 3, v[18:19]
	v_mad_u64_u32 v[30:31], null, s9, v91, v[28:29]
	v_lshlrev_b64 v[20:21], 3, v[20:21]
	v_add_co_u32 v31, s0, s2, v18
	v_add_co_ci_u32_e64 v40, s0, s3, v19, s0
	v_add_co_u32 v18, s0, v31, v20
	v_add_co_ci_u32_e64 v19, s0, v40, v21, s0
	v_lshlrev_b64 v[20:21], 3, v[29:30]
	v_add_co_u32 v28, s0, v18, s7
	v_add_co_ci_u32_e64 v29, s0, s6, v19, s0
	global_load_dwordx2 v[18:19], v[18:19], off
	v_add_co_u32 v20, s0, v31, v20
	v_add_co_ci_u32_e64 v21, s0, v40, v21, s0
	v_add_co_u32 v30, s0, v28, s7
	v_add_co_ci_u32_e64 v31, s0, s6, v29, s0
	global_load_dwordx2 v[20:21], v[20:21], off
	v_add_co_u32 v40, s0, v30, s7
	v_add_co_ci_u32_e64 v41, s0, s6, v31, s0
	v_add_co_u32 v42, s0, v40, s7
	v_add_co_ci_u32_e64 v43, s0, s6, v41, s0
	s_clause 0x2
	global_load_dwordx2 v[28:29], v[28:29], off
	global_load_dwordx2 v[30:31], v[30:31], off
	global_load_dwordx2 v[40:41], v[40:41], off
	v_add_co_u32 v44, s0, v42, s7
	v_add_co_ci_u32_e64 v45, s0, s6, v43, s0
	global_load_dwordx2 v[42:43], v[42:43], off
	v_add_co_u32 v46, s0, v44, s7
	v_add_co_ci_u32_e64 v47, s0, s6, v45, s0
	global_load_dwordx2 v[44:45], v[44:45], off
	v_add_co_u32 v48, s0, v46, s7
	v_add_co_ci_u32_e64 v49, s0, s6, v47, s0
	global_load_dwordx2 v[46:47], v[46:47], off
	v_add_co_u32 v51, s0, v48, s7
	v_add_co_ci_u32_e64 v52, s0, s6, v49, s0
	global_load_dwordx2 v[48:49], v[48:49], off
	v_add_co_u32 v53, s0, v51, s7
	v_add_co_ci_u32_e64 v54, s0, s6, v52, s0
	global_load_dwordx2 v[51:52], v[51:52], off
	v_add_co_u32 v57, s0, v53, s7
	v_add_co_ci_u32_e64 v58, s0, s6, v54, s0
	global_load_dwordx2 v[53:54], v[53:54], off
	v_add_co_u32 v59, s0, v57, s7
	v_add_co_ci_u32_e64 v60, s0, s6, v58, s0
	global_load_dwordx2 v[57:58], v[57:58], off
	v_add_co_u32 v61, s0, v59, s7
	v_add_co_ci_u32_e64 v62, s0, s6, v60, s0
	global_load_dwordx2 v[59:60], v[59:60], off
	v_add_co_u32 v63, s0, v61, s7
	v_add_co_ci_u32_e64 v64, s0, s6, v62, s0
	global_load_dwordx2 v[61:62], v[61:62], off
	v_add_co_u32 v65, s0, v63, s7
	v_add_co_ci_u32_e64 v66, s0, s6, v64, s0
	global_load_dwordx2 v[63:64], v[63:64], off
	v_add_co_u32 v67, s0, v65, s7
	v_add_co_ci_u32_e64 v68, s0, s6, v66, s0
	global_load_dwordx2 v[65:66], v[65:66], off
	s_clause 0x1
	global_load_dwordx2 v[69:70], v[22:23], off offset:864
	global_load_dwordx2 v[22:23], v[22:23], off offset:1072
	global_load_dwordx2 v[67:68], v[67:68], off
	s_waitcnt vmcnt(18)
	v_mul_f32_e32 v71, v19, v25
	v_mul_f32_e32 v72, v18, v25
	v_fmac_f32_e32 v71, v18, v24
	v_fma_f32 v72, v19, v24, -v72
	s_waitcnt vmcnt(17)
	v_mul_f32_e32 v25, v21, v27
	v_mul_f32_e32 v27, v20, v27
	ds_write_b64 v73, v[71:72]
	v_fmac_f32_e32 v25, v20, v26
	v_fma_f32 v26, v21, v26, -v27
	s_waitcnt vmcnt(16)
	v_mul_f32_e32 v18, v29, v1
	v_mul_f32_e32 v19, v28, v1
	s_waitcnt vmcnt(15)
	v_mul_f32_e32 v1, v31, v3
	s_waitcnt vmcnt(14)
	v_mul_f32_e32 v20, v40, v5
	v_fmac_f32_e32 v18, v28, v0
	v_fma_f32 v19, v29, v0, -v19
	v_mul_f32_e32 v0, v30, v3
	v_mul_f32_e32 v3, v41, v5
	s_waitcnt vmcnt(13)
	v_mul_f32_e32 v5, v43, v7
	v_mul_f32_e32 v7, v42, v7
	v_fmac_f32_e32 v1, v30, v2
	v_fma_f32 v2, v31, v2, -v0
	v_fmac_f32_e32 v3, v40, v4
	v_fma_f32 v4, v41, v4, -v20
	;; [unrolled: 2-line block ×3, first 2 shown]
	s_waitcnt vmcnt(12)
	v_mul_f32_e32 v7, v44, v9
	v_mul_f32_e32 v0, v45, v9
	ds_write2_b64 v55, v[18:19], v[1:2] offset0:26 offset1:52
	s_waitcnt vmcnt(11)
	v_mul_f32_e32 v2, v47, v11
	ds_write2_b64 v55, v[3:4], v[5:6] offset0:78 offset1:104
	v_mul_f32_e32 v3, v46, v11
	v_fma_f32 v1, v45, v8, -v7
	s_waitcnt vmcnt(10)
	v_mul_f32_e32 v4, v49, v13
	v_mul_f32_e32 v5, v48, v13
	v_fmac_f32_e32 v0, v44, v8
	s_waitcnt vmcnt(9)
	v_mul_f32_e32 v6, v52, v15
	v_mul_f32_e32 v7, v51, v15
	v_fmac_f32_e32 v2, v46, v10
	v_fma_f32 v3, v47, v10, -v3
	v_fmac_f32_e32 v4, v48, v12
	v_fma_f32 v5, v49, v12, -v5
	;; [unrolled: 2-line block ×3, first 2 shown]
	ds_write2_b64 v55, v[0:1], v[2:3] offset0:130 offset1:156
	s_waitcnt vmcnt(8)
	v_mul_f32_e32 v0, v54, v17
	v_mul_f32_e32 v1, v53, v17
	s_waitcnt vmcnt(7)
	v_mul_f32_e32 v2, v58, v33
	v_mul_f32_e32 v3, v57, v33
	ds_write2_b64 v55, v[4:5], v[6:7] offset0:182 offset1:208
	v_fmac_f32_e32 v0, v53, v16
	s_waitcnt vmcnt(6)
	v_mul_f32_e32 v4, v60, v35
	v_mul_f32_e32 v5, v59, v35
	v_fma_f32 v1, v54, v16, -v1
	v_fmac_f32_e32 v2, v57, v32
	v_fma_f32 v3, v58, v32, -v3
	s_waitcnt vmcnt(5)
	v_mul_f32_e32 v6, v62, v37
	v_mul_f32_e32 v7, v61, v37
	v_fmac_f32_e32 v4, v59, v34
	v_fma_f32 v5, v60, v34, -v5
	s_waitcnt vmcnt(4)
	v_mul_f32_e32 v8, v64, v39
	v_mul_f32_e32 v9, v63, v39
	v_fmac_f32_e32 v6, v61, v36
	s_waitcnt vmcnt(2)
	v_mul_f32_e32 v10, v66, v70
	v_mul_f32_e32 v11, v65, v70
	s_waitcnt vmcnt(0)
	v_mul_f32_e32 v12, v68, v23
	v_mul_f32_e32 v13, v67, v23
	v_fma_f32 v7, v62, v36, -v7
	v_fmac_f32_e32 v8, v63, v38
	v_fma_f32 v9, v64, v38, -v9
	v_fmac_f32_e32 v10, v65, v69
	;; [unrolled: 2-line block ×3, first 2 shown]
	v_fma_f32 v13, v68, v22, -v13
	ds_write2_b64 v74, v[0:1], v[2:3] offset0:106 offset1:132
	ds_write2_b64 v75, v[4:5], v[6:7] offset0:30 offset1:56
	;; [unrolled: 1-line block ×4, first 2 shown]
.LBB0_3:
	s_or_b32 exec_lo, exec_lo, s1
	v_mov_b32_e32 v4, 0
	v_mov_b32_e32 v5, 0
	s_waitcnt lgkmcnt(0)
	s_barrier
	buffer_gl0_inv
                                        ; implicit-def: $vgpr22
                                        ; implicit-def: $vgpr18
                                        ; implicit-def: $vgpr14
                                        ; implicit-def: $vgpr8
                                        ; implicit-def: $vgpr40
                                        ; implicit-def: $vgpr26
                                        ; implicit-def: $vgpr30
                                        ; implicit-def: $vgpr34
	s_and_saveexec_b32 s0, vcc_lo
	s_cbranch_execz .LBB0_5
; %bb.4:
	v_lshl_add_u32 v0, v50, 3, v92
	v_add_nc_u32_e32 v1, 0x800, v0
	ds_read2_b64 v[4:7], v0 offset1:26
	ds_read2_b64 v[32:35], v0 offset0:52 offset1:78
	ds_read2_b64 v[28:31], v0 offset0:104 offset1:130
	;; [unrolled: 1-line block ×7, first 2 shown]
	ds_read_b64 v[40:41], v0 offset:3328
.LBB0_5:
	s_or_b32 exec_lo, exec_lo, s0
	s_waitcnt lgkmcnt(0)
	v_sub_f32_e32 v46, v7, v41
	v_sub_f32_e32 v47, v6, v40
	v_add_f32_e32 v51, v40, v6
	v_sub_f32_e32 v48, v33, v11
	v_add_f32_e32 v52, v41, v7
	v_mul_f32_e32 v62, 0xbeb8f4ab, v46
	v_mul_f32_e32 v69, 0xbeb8f4ab, v47
	v_add_f32_e32 v53, v10, v32
	v_sub_f32_e32 v123, v32, v10
	v_mul_f32_e32 v65, 0xbf2c7751, v48
	v_fmamk_f32 v0, v51, 0x3f6eb680, v62
	v_sub_f32_e32 v49, v35, v9
	v_fma_f32 v1, 0x3f6eb680, v52, -v69
	v_add_f32_e32 v54, v11, v33
	v_mul_f32_e32 v68, 0xbf2c7751, v123
	v_add_f32_e32 v0, v0, v4
	v_fmamk_f32 v2, v53, 0x3f3d2fb0, v65
	v_sub_f32_e32 v125, v34, v8
	v_add_f32_e32 v55, v8, v34
	v_mul_f32_e32 v70, 0xbf65296c, v49
	v_sub_f32_e32 v122, v29, v15
	v_add_f32_e32 v1, v1, v5
	v_fma_f32 v3, 0x3f3d2fb0, v54, -v68
	v_add_f32_e32 v0, v2, v0
	v_add_f32_e32 v59, v9, v35
	v_mul_f32_e32 v73, 0xbf65296c, v125
	v_fmamk_f32 v2, v55, 0x3ee437d1, v70
	v_sub_f32_e32 v131, v28, v14
	v_add_f32_e32 v60, v14, v28
	v_mul_f32_e32 v74, 0xbf7ee86f, v122
	v_sub_f32_e32 v124, v31, v13
	v_add_f32_e32 v1, v3, v1
	v_fma_f32 v3, 0x3ee437d1, v59, -v73
	v_add_f32_e32 v61, v15, v29
	v_mul_f32_e32 v77, 0xbf7ee86f, v131
	v_add_f32_e32 v0, v2, v0
	v_fmamk_f32 v2, v60, 0x3dbcf732, v74
	v_sub_f32_e32 v132, v30, v12
	v_add_f32_e32 v63, v12, v30
	v_mul_f32_e32 v78, 0xbf763a35, v124
	v_sub_f32_e32 v126, v25, v19
	v_mul_f32_e32 v79, 0xbf2c7751, v46
	v_add_f32_e32 v1, v3, v1
	v_fma_f32 v3, 0x3dbcf732, v61, -v77
	v_add_f32_e32 v0, v2, v0
	v_add_f32_e32 v64, v13, v31
	v_mul_f32_e32 v80, 0xbf763a35, v132
	v_fmamk_f32 v2, v63, 0xbe8c1d8e, v78
	v_sub_f32_e32 v140, v24, v18
	v_add_f32_e32 v66, v18, v24
	v_mul_f32_e32 v81, 0xbf4c4adb, v126
	v_sub_f32_e32 v133, v27, v17
	v_add_f32_e32 v1, v3, v1
	v_fma_f32 v3, 0xbe8c1d8e, v64, -v80
	v_add_f32_e32 v67, v19, v25
	v_mul_f32_e32 v82, 0xbf4c4adb, v140
	v_add_f32_e32 v0, v2, v0
	v_fmamk_f32 v2, v66, 0xbf1a4643, v81
	v_sub_f32_e32 v139, v26, v16
	v_add_f32_e32 v71, v16, v26
	v_mul_f32_e32 v83, 0xbf06c442, v133
	v_fmamk_f32 v36, v51, 0x3f3d2fb0, v79
	v_mul_f32_e32 v89, 0xbf7ee86f, v48
	v_mul_f32_e32 v104, 0xbf2c7751, v47
	v_add_f32_e32 v1, v3, v1
	v_fma_f32 v3, 0xbf1a4643, v67, -v82
	v_add_f32_e32 v0, v2, v0
	v_add_f32_e32 v72, v17, v27
	v_mul_f32_e32 v84, 0xbf06c442, v139
	v_fmamk_f32 v2, v71, 0xbf59a7d5, v83
	v_add_f32_e32 v36, v36, v4
	v_fmamk_f32 v37, v53, 0x3dbcf732, v89
	v_fma_f32 v38, 0x3f3d2fb0, v52, -v104
	v_mul_f32_e32 v102, 0xbf7ee86f, v123
	v_mul_f32_e32 v90, 0xbf4c4adb, v49
	v_add_f32_e32 v1, v3, v1
	v_fma_f32 v3, 0xbf59a7d5, v72, -v84
	v_add_f32_e32 v0, v2, v0
	v_add_f32_e32 v2, v37, v36
	;; [unrolled: 1-line block ×3, first 2 shown]
	v_fma_f32 v37, 0x3dbcf732, v54, -v102
	v_fmamk_f32 v38, v55, 0xbf1a4643, v90
	v_mul_f32_e32 v101, 0xbf4c4adb, v125
	v_mul_f32_e32 v95, 0xbe3c28d5, v122
	v_sub_f32_e32 v141, v21, v23
	v_add_f32_e32 v1, v3, v1
	v_add_f32_e32 v3, v37, v36
	;; [unrolled: 1-line block ×3, first 2 shown]
	v_fma_f32 v36, 0xbf1a4643, v59, -v101
	v_fmamk_f32 v37, v60, 0xbf7ba420, v95
	v_mul_f32_e32 v98, 0xbe3c28d5, v131
	v_mul_f32_e32 v96, 0x3f06c442, v124
	v_sub_f32_e32 v142, v20, v22
	v_add_f32_e32 v75, v22, v20
	v_mul_f32_e32 v85, 0xbe3c28d5, v141
	v_add_f32_e32 v3, v36, v3
	v_add_f32_e32 v2, v37, v2
	v_fma_f32 v36, 0xbf7ba420, v61, -v98
	v_fmamk_f32 v37, v63, 0xbf59a7d5, v96
	v_mul_f32_e32 v99, 0x3f06c442, v132
	v_add_f32_e32 v76, v23, v21
	v_mul_f32_e32 v86, 0xbe3c28d5, v142
	v_fmamk_f32 v38, v75, 0xbf7ba420, v85
	v_mul_f32_e32 v97, 0x3f763a35, v126
	v_add_f32_e32 v3, v36, v3
	v_add_f32_e32 v36, v37, v2
	v_fma_f32 v37, 0xbf59a7d5, v64, -v99
	v_mul_f32_e32 v100, 0x3f763a35, v140
	v_fma_f32 v39, 0xbf7ba420, v76, -v86
	v_fmamk_f32 v42, v66, 0xbe8c1d8e, v97
	v_add_f32_e32 v2, v38, v0
	v_mul_f32_e32 v87, 0x3f65296c, v133
	v_add_f32_e32 v0, v37, v3
	v_fma_f32 v37, 0xbe8c1d8e, v67, -v100
	v_mul_f32_e32 v103, 0x3f65296c, v139
	v_mul_f32_e32 v112, 0xbf65296c, v46
	v_add_f32_e32 v36, v42, v36
	v_fmamk_f32 v38, v71, 0x3ee437d1, v87
	v_add_f32_e32 v3, v39, v1
	v_add_f32_e32 v0, v37, v0
	v_fma_f32 v1, 0x3ee437d1, v72, -v103
	v_fmamk_f32 v37, v51, 0x3ee437d1, v112
	v_mul_f32_e32 v111, 0xbf4c4adb, v48
	v_mul_f32_e32 v120, 0xbf65296c, v47
	v_add_f32_e32 v36, v38, v36
	v_add_f32_e32 v1, v1, v0
	v_mul_f32_e32 v88, 0x3eb8f4ab, v141
	v_add_f32_e32 v0, v37, v4
	v_fmamk_f32 v37, v53, 0xbf1a4643, v111
	v_fma_f32 v38, 0x3ee437d1, v52, -v120
	v_mul_f32_e32 v121, 0xbf4c4adb, v123
	v_mul_f32_e32 v109, 0x3e3c28d5, v49
	v_fmamk_f32 v39, v75, 0x3f6eb680, v88
	v_add_f32_e32 v37, v37, v0
	v_add_f32_e32 v38, v38, v5
	v_fma_f32 v42, 0xbf1a4643, v54, -v121
	v_fmamk_f32 v43, v55, 0xbf7ba420, v109
	v_mul_f32_e32 v119, 0x3e3c28d5, v125
	v_mul_f32_e32 v106, 0x3f763a35, v122
	v_add_f32_e32 v0, v39, v36
	v_add_f32_e32 v36, v42, v38
	;; [unrolled: 1-line block ×3, first 2 shown]
	v_fma_f32 v38, 0xbf7ba420, v59, -v119
	v_fmamk_f32 v39, v60, 0xbe8c1d8e, v106
	v_mul_f32_e32 v117, 0x3f763a35, v131
	v_mul_f32_e32 v107, 0x3f2c7751, v124
	v_mul_f32_e32 v116, 0x3f2c7751, v132
	v_add_f32_e32 v36, v38, v36
	v_add_f32_e32 v37, v39, v37
	v_fma_f32 v38, 0xbe8c1d8e, v61, -v117
	v_fmamk_f32 v39, v63, 0x3f3d2fb0, v107
	v_mul_f32_e32 v108, 0xbeb8f4ab, v126
	v_mul_f32_e32 v105, 0x3eb8f4ab, v142
	;; [unrolled: 1-line block ×3, first 2 shown]
	v_add_f32_e32 v36, v38, v36
	v_add_f32_e32 v37, v39, v37
	v_fma_f32 v38, 0x3f3d2fb0, v64, -v116
	v_fmamk_f32 v39, v66, 0x3f6eb680, v108
	v_mul_f32_e32 v110, 0xbf7ee86f, v133
	v_fma_f32 v42, 0x3f6eb680, v76, -v105
	v_mul_f32_e32 v114, 0xbf7ee86f, v139
	v_add_f32_e32 v36, v38, v36
	v_fma_f32 v38, 0x3f6eb680, v67, -v115
	v_add_f32_e32 v37, v39, v37
	v_fmamk_f32 v39, v71, 0x3dbcf732, v110
	v_mul_f32_e32 v136, 0xbf7ee86f, v46
	v_mul_f32_e32 v157, 0xbf7ee86f, v47
	v_add_f32_e32 v1, v42, v1
	v_add_f32_e32 v36, v38, v36
	v_add_f32_e32 v37, v39, v37
	v_fma_f32 v38, 0x3dbcf732, v72, -v114
	v_fmamk_f32 v39, v51, 0x3dbcf732, v136
	v_mul_f32_e32 v137, 0xbe3c28d5, v48
	v_fma_f32 v42, 0x3dbcf732, v52, -v157
	v_mul_f32_e32 v158, 0xbe3c28d5, v123
	v_add_f32_e32 v36, v38, v36
	v_add_f32_e32 v38, v39, v4
	v_fmamk_f32 v39, v53, 0xbf7ba420, v137
	v_add_f32_e32 v42, v42, v5
	v_fma_f32 v43, 0xbf7ba420, v54, -v158
	v_mul_f32_e32 v134, 0x3f763a35, v49
	v_mul_f32_e32 v155, 0x3f763a35, v125
	;; [unrolled: 1-line block ×3, first 2 shown]
	v_add_f32_e32 v38, v39, v38
	v_add_f32_e32 v39, v43, v42
	v_fmamk_f32 v42, v55, 0xbe8c1d8e, v134
	v_fma_f32 v43, 0xbe8c1d8e, v59, -v155
	v_mul_f32_e32 v130, 0x3eb8f4ab, v122
	v_mul_f32_e32 v154, 0x3eb8f4ab, v131
	v_fmamk_f32 v44, v75, 0xbf59a7d5, v113
	v_add_f32_e32 v38, v42, v38
	v_add_f32_e32 v39, v43, v39
	v_fmamk_f32 v42, v60, 0x3f6eb680, v130
	v_fma_f32 v43, 0x3f6eb680, v61, -v154
	v_mul_f32_e32 v129, 0xbf65296c, v124
	v_mul_f32_e32 v153, 0xbf65296c, v132
	v_add_f32_e32 v57, v44, v37
	v_add_f32_e32 v37, v42, v38
	;; [unrolled: 1-line block ×3, first 2 shown]
	v_fmamk_f32 v39, v63, 0x3ee437d1, v129
	v_mul_f32_e32 v128, 0xbf06c442, v126
	v_fma_f32 v42, 0x3ee437d1, v64, -v153
	v_mul_f32_e32 v147, 0xbf06c442, v140
	v_mul_f32_e32 v127, 0x3f4c4adb, v133
	v_add_f32_e32 v37, v39, v37
	v_fmamk_f32 v39, v66, 0xbf59a7d5, v128
	v_add_f32_e32 v38, v42, v38
	v_fma_f32 v42, 0xbf59a7d5, v67, -v147
	v_mul_f32_e32 v146, 0x3f4c4adb, v139
	v_mul_f32_e32 v174, 0xbf763a35, v46
	v_add_f32_e32 v37, v39, v37
	v_fmamk_f32 v39, v71, 0xbf1a4643, v127
	v_add_f32_e32 v38, v42, v38
	v_fma_f32 v42, 0xbf1a4643, v72, -v146
	v_fmamk_f32 v44, v51, 0xbe8c1d8e, v174
	v_mul_f32_e32 v173, 0x3f06c442, v48
	v_mul_f32_e32 v185, 0xbf763a35, v47
	v_add_f32_e32 v37, v39, v37
	v_add_f32_e32 v39, v42, v38
	;; [unrolled: 1-line block ×3, first 2 shown]
	v_fmamk_f32 v42, v53, 0xbf59a7d5, v173
	v_mul_f32_e32 v177, 0x3f2c7751, v49
	v_fma_f32 v44, 0xbe8c1d8e, v52, -v185
	v_mul_f32_e32 v184, 0x3f06c442, v123
	v_mul_f32_e32 v175, 0xbf65296c, v122
	v_add_f32_e32 v38, v42, v38
	v_fmamk_f32 v42, v55, 0x3f3d2fb0, v177
	v_add_f32_e32 v44, v44, v5
	v_fma_f32 v45, 0xbf59a7d5, v54, -v184
	v_mul_f32_e32 v183, 0x3f2c7751, v125
	v_mul_f32_e32 v170, 0xbe3c28d5, v124
	v_add_f32_e32 v38, v42, v38
	v_fmamk_f32 v42, v60, 0x3ee437d1, v175
	v_add_f32_e32 v44, v45, v44
	;; [unrolled: 6-line block ×4, first 2 shown]
	v_fma_f32 v45, 0xbf7ba420, v64, -v181
	v_mul_f32_e32 v169, 0xbeb8f4ab, v133
	v_mul_f32_e32 v179, 0xbeb8f4ab, v139
	v_add_f32_e32 v38, v42, v38
	s_clause 0x1
	s_load_dwordx2 s[6:7], s[4:5], 0x20
	s_load_dwordx2 s[2:3], s[4:5], 0x8
	v_add_f32_e32 v42, v45, v44
	v_fma_f32 v44, 0x3dbcf732, v67, -v180
	v_mul_f32_e32 v118, 0xbf06c442, v142
	v_mul_f32_e32 v138, 0x3f2c7751, v141
	v_mul_f32_e32 v165, 0x3f2c7751, v142
	v_fmamk_f32 v45, v71, 0x3f6eb680, v169
	v_mul_f32_e32 v171, 0xbf4c4adb, v141
	v_add_f32_e32 v42, v44, v42
	v_fma_f32 v44, 0x3f6eb680, v72, -v179
	v_mul_f32_e32 v178, 0xbf4c4adb, v142
	v_fma_f32 v43, 0xbf59a7d5, v76, -v118
	v_fmamk_f32 v135, v75, 0x3f3d2fb0, v138
	v_fma_f32 v143, 0x3f3d2fb0, v76, -v165
	v_add_f32_e32 v45, v45, v38
	v_fmamk_f32 v144, v75, 0xbf1a4643, v171
	v_add_f32_e32 v42, v44, v42
	v_fma_f32 v44, 0xbf1a4643, v76, -v178
	v_add_f32_e32 v58, v43, v36
	v_add_f32_e32 v38, v135, v37
	;; [unrolled: 1-line block ×5, first 2 shown]
	s_waitcnt lgkmcnt(0)
	s_barrier
	buffer_gl0_inv
	s_and_saveexec_b32 s0, vcc_lo
	s_cbranch_execz .LBB0_7
; %bb.6:
	v_mul_f32_e32 v44, 0xbf59a7d5, v52
	v_mul_f32_e32 v45, 0x3ee437d1, v54
	;; [unrolled: 1-line block ×5, first 2 shown]
	v_fmamk_f32 v42, v47, 0x3f06c442, v44
	v_fmamk_f32 v43, v123, 0xbf65296c, v45
	v_mul_f32_e32 v187, 0x3f65296c, v48
	v_fmamk_f32 v135, v125, 0x3f7ee86f, v159
	v_mul_f32_e32 v167, 0x3f6eb680, v64
	v_add_f32_e32 v42, v42, v5
	v_mul_f32_e32 v188, 0xbf7ee86f, v49
	v_fmamk_f32 v143, v131, 0xbf4c4adb, v166
	v_fmamk_f32 v144, v53, 0x3ee437d1, v187
	v_mul_f32_e32 v172, 0xbf7ba420, v67
	v_add_f32_e32 v42, v43, v42
	v_fmamk_f32 v43, v51, 0xbf59a7d5, v164
	v_mul_f32_e32 v189, 0x3f4c4adb, v122
	v_fmamk_f32 v145, v132, 0x3eb8f4ab, v167
	v_mul_f32_e32 v190, 0xbeb8f4ab, v124
	v_add_f32_e32 v42, v135, v42
	v_add_f32_e32 v43, v43, v4
	v_fmamk_f32 v148, v60, 0xbf1a4643, v189
	v_mul_f32_e32 v176, 0x3f3d2fb0, v72
	v_mul_f32_e32 v191, 0xbe3c28d5, v126
	v_add_f32_e32 v42, v143, v42
	v_fmamk_f32 v143, v55, 0x3dbcf732, v188
	v_add_f32_e32 v43, v144, v43
	v_fmamk_f32 v144, v140, 0x3e3c28d5, v172
	v_mul_f32_e32 v135, 0xbe3c28d5, v47
	v_add_f32_e32 v42, v145, v42
	v_fmamk_f32 v145, v139, 0xbf2c7751, v176
	v_add_f32_e32 v43, v143, v43
	v_mul_f32_e32 v143, 0x3eb8f4ab, v123
	v_fmamk_f32 v149, v52, 0xbf7ba420, v135
	v_add_f32_e32 v42, v144, v42
	v_fmamk_f32 v144, v63, 0x3f6eb680, v190
	v_add_f32_e32 v43, v148, v43
	v_fmamk_f32 v150, v66, 0xbf7ba420, v191
	v_mul_f32_e32 v192, 0x3f2c7751, v133
	v_add_f32_e32 v148, v149, v5
	v_add_f32_e32 v42, v145, v42
	;; [unrolled: 1-line block ×3, first 2 shown]
	v_fmamk_f32 v149, v54, 0x3f6eb680, v143
	v_mul_f32_e32 v145, 0xbf06c442, v125
	v_mul_f32_e32 v161, 0xbe3c28d5, v46
	;; [unrolled: 1-line block ×3, first 2 shown]
	v_add_f32_e32 v43, v150, v43
	v_fmamk_f32 v150, v71, 0x3f3d2fb0, v192
	v_add_f32_e32 v148, v149, v148
	v_fmamk_f32 v149, v59, 0xbf59a7d5, v145
	v_mul_f32_e32 v144, 0x3f2c7751, v131
	v_mul_f32_e32 v193, 0xbf763a35, v141
	v_add_f32_e32 v150, v150, v43
	v_fma_f32 v43, 0xbf7ba420, v51, -v161
	v_mul_f32_e32 v162, 0x3eb8f4ab, v48
	v_add_f32_e32 v148, v149, v148
	v_fmamk_f32 v149, v61, 0x3f3d2fb0, v144
	v_mul_f32_e32 v160, 0xbf4c4adb, v132
	v_fmamk_f32 v151, v142, 0x3f763a35, v186
	v_fmamk_f32 v152, v75, 0xbe8c1d8e, v193
	v_add_f32_e32 v194, v43, v4
	v_fma_f32 v195, 0x3f6eb680, v53, -v162
	v_mul_f32_e32 v156, 0xbf06c442, v49
	v_add_f32_e32 v148, v149, v148
	v_fmamk_f32 v149, v64, 0xbf1a4643, v160
	v_mul_f32_e32 v163, 0x3f65296c, v140
	v_add_f32_e32 v43, v151, v42
	v_add_f32_e32 v42, v152, v150
	;; [unrolled: 1-line block ×3, first 2 shown]
	v_fma_f32 v152, 0xbf59a7d5, v55, -v156
	v_mul_f32_e32 v150, 0x3f2c7751, v122
	v_add_f32_e32 v194, v149, v148
	v_fmamk_f32 v195, v67, 0x3ee437d1, v163
	v_mul_f32_e32 v148, 0xbf763a35, v139
	v_add_f32_e32 v151, v152, v151
	v_fma_f32 v152, 0x3f3d2fb0, v60, -v150
	v_mul_f32_e32 v149, 0xbf4c4adb, v124
	v_add_f32_e32 v194, v195, v194
	v_fmamk_f32 v195, v72, 0xbe8c1d8e, v148
	v_fmac_f32_e32 v44, 0xbf06c442, v47
	v_add_f32_e32 v151, v152, v151
	v_fma_f32 v196, 0xbf1a4643, v63, -v149
	v_mul_f32_e32 v152, 0x3f65296c, v126
	v_add_f32_e32 v194, v195, v194
	v_add_f32_e32 v44, v44, v5
	v_fmac_f32_e32 v45, 0x3f65296c, v123
	v_add_f32_e32 v195, v196, v151
	v_fma_f32 v196, 0x3ee437d1, v66, -v152
	v_mul_f32_e32 v151, 0xbf763a35, v133
	v_fma_f32 v164, 0xbf59a7d5, v51, -v164
	v_add_f32_e32 v44, v45, v44
	v_fmac_f32_e32 v159, 0xbf7ee86f, v125
	v_add_f32_e32 v45, v196, v195
	v_fma_f32 v195, 0xbe8c1d8e, v71, -v151
	v_add_f32_e32 v196, v164, v4
	v_fma_f32 v187, 0x3ee437d1, v53, -v187
	v_add_f32_e32 v44, v159, v44
	v_fmac_f32_e32 v166, 0x3f4c4adb, v131
	v_add_f32_e32 v195, v195, v45
	v_mul_f32_e32 v164, 0x3f7ee86f, v142
	v_add_f32_e32 v45, v187, v196
	v_fma_f32 v187, 0x3dbcf732, v55, -v188
	v_add_f32_e32 v44, v166, v44
	v_fmac_f32_e32 v167, 0xbeb8f4ab, v132
	v_fmamk_f32 v166, v76, 0x3dbcf732, v164
	v_mul_f32_e32 v159, 0x3f7ee86f, v141
	v_add_f32_e32 v187, v187, v45
	v_fma_f32 v188, 0xbf1a4643, v60, -v189
	v_add_f32_e32 v44, v167, v44
	v_fmac_f32_e32 v172, 0xbe3c28d5, v140
	v_add_f32_e32 v45, v166, v194
	v_fma_f32 v166, 0x3dbcf732, v75, -v159
	v_add_f32_e32 v167, v188, v187
	v_fma_f32 v187, 0x3f6eb680, v63, -v190
	v_add_f32_e32 v172, v172, v44
	v_fmac_f32_e32 v176, 0x3f2c7751, v139
	v_add_f32_e32 v44, v166, v195
	v_mul_f32_e32 v166, 0xbf4c4adb, v47
	v_add_f32_e32 v47, v187, v167
	v_fma_f32 v167, 0xbf7ba420, v66, -v191
	v_add_f32_e32 v172, v176, v172
	v_fmac_f32_e32 v186, 0xbf763a35, v142
	v_fmamk_f32 v176, v52, 0xbf1a4643, v166
	v_mul_f32_e32 v123, 0x3f763a35, v123
	v_add_f32_e32 v167, v167, v47
	v_fma_f32 v187, 0x3f3d2fb0, v71, -v192
	v_add_f32_e32 v47, v186, v172
	v_add_f32_e32 v172, v176, v5
	v_fmamk_f32 v176, v54, 0xbe8c1d8e, v123
	v_mul_f32_e32 v125, 0xbeb8f4ab, v125
	v_add_f32_e32 v186, v187, v167
	v_fma_f32 v187, 0xbe8c1d8e, v75, -v193
	v_mul_f32_e32 v167, 0xbf4c4adb, v46
	v_add_f32_e32 v176, v176, v172
	v_fmamk_f32 v188, v59, 0x3f6eb680, v125
	v_mul_f32_e32 v131, 0xbf06c442, v131
	v_add_f32_e32 v46, v187, v186
	v_fma_f32 v186, 0xbf1a4643, v51, -v167
	v_mul_f32_e32 v172, 0x3f763a35, v48
	;; [unrolled: 6-line block ×5, first 2 shown]
	v_add_f32_e32 v48, v49, v48
	v_mul_f32_e32 v49, 0xbf59a7d5, v54
	v_mul_f32_e32 v126, 0xbf2c7751, v126
	v_add_f32_e32 v187, v188, v187
	v_fma_f32 v188, 0x3dbcf732, v63, -v124
	v_add_f32_e32 v185, v185, v189
	v_mul_f32_e32 v139, 0xbe3c28d5, v139
	v_add_f32_e32 v49, v184, v49
	v_mul_f32_e32 v133, 0xbe3c28d5, v133
	v_add_f32_e32 v187, v188, v187
	v_fma_f32 v188, 0x3f3d2fb0, v66, -v126
	v_add_f32_e32 v185, v185, v5
	v_mul_f32_e32 v184, 0x3f3d2fb0, v59
	v_mul_f32_e32 v142, 0x3f65296c, v142
	;; [unrolled: 1-line block ×3, first 2 shown]
	v_add_f32_e32 v187, v188, v187
	v_fmamk_f32 v188, v72, 0xbf7ba420, v139
	v_add_f32_e32 v49, v49, v185
	v_fma_f32 v185, 0xbf7ba420, v71, -v133
	v_add_f32_e32 v183, v183, v184
	v_mul_f32_e32 v184, 0x3ee437d1, v61
	v_add_f32_e32 v48, v188, v48
	v_fmamk_f32 v188, v76, 0x3ee437d1, v142
	v_add_f32_e32 v185, v185, v187
	v_fma_f32 v187, 0x3ee437d1, v75, -v141
	v_add_f32_e32 v183, v183, v49
	v_add_f32_e32 v182, v182, v184
	v_mul_f32_e32 v184, 0xbe8c1d8e, v51
	v_add_f32_e32 v49, v188, v48
	v_add_f32_e32 v48, v187, v185
	v_mul_f32_e32 v187, 0xbf7ba420, v64
	v_add_f32_e32 v182, v182, v183
	v_mul_f32_e32 v183, 0xbf59a7d5, v53
	v_sub_f32_e32 v174, v184, v174
	v_add_f32_e32 v7, v7, v5
	v_add_f32_e32 v181, v181, v187
	v_mul_f32_e32 v187, 0x3dbcf732, v67
	v_sub_f32_e32 v173, v183, v173
	v_add_f32_e32 v174, v174, v4
	v_add_f32_e32 v6, v6, v4
	;; [unrolled: 1-line block ×3, first 2 shown]
	v_mul_f32_e32 v182, 0x3f3d2fb0, v55
	v_add_f32_e32 v180, v180, v187
	v_add_f32_e32 v173, v173, v174
	;; [unrolled: 1-line block ×4, first 2 shown]
	v_sub_f32_e32 v177, v182, v177
	v_add_f32_e32 v180, v180, v181
	v_mul_f32_e32 v181, 0x3ee437d1, v60
	v_mul_f32_e32 v182, 0x3dbcf732, v52
	;; [unrolled: 1-line block ×3, first 2 shown]
	v_add_f32_e32 v173, v177, v173
	v_mul_f32_e32 v177, 0xbf1a4643, v76
	v_sub_f32_e32 v175, v181, v175
	v_add_f32_e32 v157, v157, v182
	v_add_f32_e32 v7, v35, v7
	;; [unrolled: 1-line block ×4, first 2 shown]
	v_mul_f32_e32 v178, 0xbf7ba420, v63
	v_add_f32_e32 v173, v175, v173
	v_mul_f32_e32 v175, 0xbf7ba420, v54
	v_add_f32_e32 v157, v157, v5
	v_sub_f32_e32 v136, v187, v136
	v_sub_f32_e32 v170, v178, v170
	v_mul_f32_e32 v178, 0x3dbcf732, v66
	v_add_f32_e32 v158, v158, v175
	v_add_f32_e32 v7, v29, v7
	;; [unrolled: 1-line block ×4, first 2 shown]
	v_mul_f32_e32 v173, 0xbe8c1d8e, v59
	v_sub_f32_e32 v168, v178, v168
	v_add_f32_e32 v157, v158, v157
	v_mul_f32_e32 v158, 0x3f6eb680, v71
	v_add_f32_e32 v136, v136, v4
	v_add_f32_e32 v155, v155, v173
	;; [unrolled: 1-line block ×3, first 2 shown]
	v_mul_f32_e32 v170, 0x3f6eb680, v61
	v_sub_f32_e32 v158, v158, v169
	v_mul_f32_e32 v173, 0xbf7ba420, v53
	v_add_f32_e32 v155, v155, v157
	v_mul_f32_e32 v157, 0xbf1a4643, v75
	v_add_f32_e32 v154, v154, v170
	v_add_f32_e32 v158, v158, v168
	v_mul_f32_e32 v168, 0x3ee437d1, v64
	v_sub_f32_e32 v137, v173, v137
	v_sub_f32_e32 v157, v157, v171
	v_add_f32_e32 v155, v154, v155
	v_add_f32_e32 v7, v31, v7
	v_add_f32_e32 v168, v153, v168
	v_add_f32_e32 v6, v30, v6
	v_mul_f32_e32 v183, 0x3ee437d1, v52
	v_mul_f32_e32 v174, 0x3f6eb680, v72
	v_add_f32_e32 v153, v157, v158
	v_mul_f32_e32 v158, 0xbf59a7d5, v67
	v_add_f32_e32 v155, v168, v155
	;; [unrolled: 2-line block ×4, first 2 shown]
	v_add_f32_e32 v6, v24, v6
	v_mul_f32_e32 v190, 0x3f3d2fb0, v51
	v_mul_f32_e32 v184, 0x3ee437d1, v51
	v_add_f32_e32 v174, v179, v174
	v_mul_f32_e32 v178, 0xbf1a4643, v54
	v_add_f32_e32 v147, v147, v158
	v_mul_f32_e32 v158, 0xbf1a4643, v72
	v_sub_f32_e32 v134, v168, v134
	v_add_f32_e32 v137, v165, v137
	v_mul_f32_e32 v165, 0x3f6eb680, v60
	v_add_f32_e32 v120, v120, v183
	v_add_f32_e32 v7, v27, v7
	;; [unrolled: 1-line block ×3, first 2 shown]
	v_mul_f32_e32 v185, 0x3f3d2fb0, v52
	v_add_f32_e32 v174, v174, v180
	v_mul_f32_e32 v180, 0x3dbcf732, v53
	v_mul_f32_e32 v175, 0xbf1a4643, v53
	;; [unrolled: 1-line block ×3, first 2 shown]
	v_add_f32_e32 v147, v147, v155
	v_add_f32_e32 v146, v146, v158
	;; [unrolled: 1-line block ×3, first 2 shown]
	v_sub_f32_e32 v130, v165, v130
	v_mul_f32_e32 v165, 0x3ee437d1, v63
	v_add_f32_e32 v121, v121, v178
	v_add_f32_e32 v120, v120, v5
	v_sub_f32_e32 v112, v184, v112
	v_sub_f32_e32 v79, v190, v79
	v_add_f32_e32 v7, v21, v7
	v_add_f32_e32 v6, v20, v6
	v_mul_f32_e32 v182, 0x3dbcf732, v54
	v_mul_f32_e32 v171, 0xbf1a4643, v55
	;; [unrolled: 1-line block ×3, first 2 shown]
	v_add_f32_e32 v146, v146, v147
	v_mul_f32_e32 v147, 0xbe8c1d8e, v61
	v_add_f32_e32 v130, v130, v134
	v_sub_f32_e32 v129, v165, v129
	v_add_f32_e32 v120, v121, v120
	v_mul_f32_e32 v121, 0xbf59a7d5, v66
	v_add_f32_e32 v119, v119, v157
	v_add_f32_e32 v104, v104, v185
	v_sub_f32_e32 v111, v175, v111
	v_add_f32_e32 v112, v112, v4
	v_add_f32_e32 v79, v79, v4
	v_sub_f32_e32 v89, v180, v89
	v_add_f32_e32 v7, v23, v7
	v_add_f32_e32 v6, v22, v6
	v_mul_f32_e32 v188, 0xbf1a4643, v59
	v_mul_f32_e32 v155, 0xbf7ba420, v60
	;; [unrolled: 1-line block ×3, first 2 shown]
	v_add_f32_e32 v129, v129, v130
	v_sub_f32_e32 v121, v121, v128
	v_add_f32_e32 v119, v119, v120
	v_mul_f32_e32 v120, 0xbf1a4643, v71
	v_add_f32_e32 v117, v117, v147
	v_add_f32_e32 v104, v104, v5
	;; [unrolled: 1-line block ×4, first 2 shown]
	v_sub_f32_e32 v109, v191, v109
	v_add_f32_e32 v79, v89, v79
	v_sub_f32_e32 v89, v171, v90
	v_add_f32_e32 v17, v17, v7
	v_add_f32_e32 v6, v16, v6
	v_mul_f32_e32 v158, 0xbf7ba420, v61
	v_mul_f32_e32 v178, 0xbf59a7d5, v63
	;; [unrolled: 1-line block ×4, first 2 shown]
	v_add_f32_e32 v121, v121, v129
	v_sub_f32_e32 v120, v120, v127
	v_add_f32_e32 v117, v117, v119
	v_mul_f32_e32 v119, 0x3f3d2fb0, v75
	v_add_f32_e32 v102, v102, v104
	v_add_f32_e32 v101, v101, v188
	;; [unrolled: 1-line block ×3, first 2 shown]
	v_sub_f32_e32 v106, v168, v106
	v_add_f32_e32 v79, v89, v79
	v_sub_f32_e32 v89, v155, v95
	v_add_f32_e32 v17, v19, v17
	v_add_f32_e32 v6, v18, v6
	v_fma_f32 v18, 0xbf7ba420, v52, -v135
	v_mul_f32_e32 v147, 0xbe8c1d8e, v66
	v_mul_f32_e32 v127, 0x3f6eb680, v66
	v_add_f32_e32 v116, v116, v157
	v_mul_f32_e32 v157, 0x3f6eb680, v67
	v_add_f32_e32 v120, v120, v121
	v_sub_f32_e32 v119, v119, v138
	v_add_f32_e32 v101, v101, v102
	v_add_f32_e32 v98, v98, v158
	;; [unrolled: 1-line block ×3, first 2 shown]
	v_sub_f32_e32 v106, v165, v107
	v_add_f32_e32 v79, v89, v79
	v_sub_f32_e32 v89, v178, v96
	v_add_f32_e32 v13, v13, v17
	v_add_f32_e32 v6, v12, v6
	;; [unrolled: 1-line block ×3, first 2 shown]
	v_fma_f32 v17, 0x3f6eb680, v54, -v143
	v_add_f32_e32 v117, v116, v117
	v_mul_f32_e32 v183, 0x3ee437d1, v71
	v_add_f32_e32 v157, v115, v157
	v_add_f32_e32 v115, v119, v120
	v_mul_f32_e32 v120, 0x3dbcf732, v71
	v_add_f32_e32 v98, v98, v101
	v_add_f32_e32 v90, v106, v102
	v_sub_f32_e32 v101, v127, v108
	v_add_f32_e32 v79, v89, v79
	v_sub_f32_e32 v97, v147, v97
	v_add_f32_e32 v13, v15, v13
	v_add_f32_e32 v14, v14, v6
	;; [unrolled: 1-line block ×3, first 2 shown]
	v_fma_f32 v15, 0xbf59a7d5, v59, -v145
	v_add_f32_e32 v117, v157, v117
	v_mul_f32_e32 v157, 0x3f6eb680, v75
	v_mul_f32_e32 v175, 0xbf59a7d5, v75
	v_add_f32_e32 v90, v101, v90
	v_sub_f32_e32 v95, v120, v110
	v_add_f32_e32 v79, v97, v79
	v_sub_f32_e32 v87, v183, v87
	v_add_f32_e32 v9, v9, v13
	v_add_f32_e32 v8, v8, v14
	;; [unrolled: 1-line block ×3, first 2 shown]
	v_fma_f32 v13, 0x3f3d2fb0, v61, -v144
	v_mul_f32_e32 v186, 0x3f6eb680, v51
	v_mul_f32_e32 v189, 0x3f6eb680, v52
	v_add_f32_e32 v95, v95, v90
	v_sub_f32_e32 v96, v175, v113
	v_add_f32_e32 v32, v87, v79
	v_sub_f32_e32 v33, v157, v88
	v_add_f32_e32 v8, v10, v8
	v_add_f32_e32 v10, v13, v12
	v_fma_f32 v12, 0xbf1a4643, v64, -v160
	v_mul_f32_e32 v179, 0x3f3d2fb0, v53
	v_mul_f32_e32 v181, 0x3f3d2fb0, v54
	v_add_f32_e32 v89, v96, v95
	v_add_f32_e32 v69, v69, v189
	;; [unrolled: 1-line block ×3, first 2 shown]
	v_sub_f32_e32 v32, v186, v62
	v_add_f32_e32 v10, v12, v10
	v_fma_f32 v12, 0x3ee437d1, v67, -v163
	v_fma_f32 v13, 0xbf1a4643, v52, -v166
	v_fmac_f32_e32 v161, 0xbf7ba420, v51
	v_mul_f32_e32 v169, 0x3ee437d1, v55
	v_mul_f32_e32 v170, 0x3ee437d1, v59
	v_add_f32_e32 v69, v69, v5
	v_add_f32_e32 v68, v68, v181
	;; [unrolled: 1-line block ×3, first 2 shown]
	v_sub_f32_e32 v30, v179, v65
	v_fmac_f32_e32 v167, 0xbf1a4643, v51
	v_add_f32_e32 v10, v12, v10
	v_add_f32_e32 v5, v13, v5
	v_fma_f32 v12, 0xbe8c1d8e, v54, -v123
	v_add_f32_e32 v9, v11, v9
	v_add_f32_e32 v11, v161, v4
	v_fmac_f32_e32 v162, 0x3f6eb680, v53
	v_add_f32_e32 v154, v177, v174
	v_mul_f32_e32 v174, 0x3dbcf732, v60
	v_mul_f32_e32 v173, 0x3dbcf732, v61
	v_add_f32_e32 v68, v68, v69
	v_add_f32_e32 v34, v73, v170
	;; [unrolled: 1-line block ×3, first 2 shown]
	v_sub_f32_e32 v25, v169, v70
	v_add_f32_e32 v4, v167, v4
	v_fmac_f32_e32 v172, 0xbe8c1d8e, v53
	v_add_f32_e32 v5, v12, v5
	v_fma_f32 v12, 0x3f6eb680, v59, -v125
	v_add_f32_e32 v11, v162, v11
	v_fmac_f32_e32 v156, 0xbf59a7d5, v55
	v_mul_f32_e32 v136, 0xbe8c1d8e, v63
	v_mul_f32_e32 v177, 0xbe8c1d8e, v64
	v_add_f32_e32 v28, v34, v68
	v_add_f32_e32 v29, v77, v173
	;; [unrolled: 1-line block ×3, first 2 shown]
	v_sub_f32_e32 v25, v174, v74
	v_add_f32_e32 v4, v172, v4
	v_fmac_f32_e32 v176, 0x3f6eb680, v55
	v_add_f32_e32 v5, v12, v5
	v_fma_f32 v12, 0xbf59a7d5, v61, -v131
	v_mul_f32_e32 v134, 0xbf59a7d5, v64
	v_add_f32_e32 v11, v156, v11
	v_fmac_f32_e32 v150, 0x3f3d2fb0, v60
	v_mul_f32_e32 v130, 0xbf1a4643, v66
	v_mul_f32_e32 v128, 0xbf1a4643, v67
	v_add_f32_e32 v28, v29, v28
	v_add_f32_e32 v29, v80, v177
	;; [unrolled: 1-line block ×3, first 2 shown]
	v_sub_f32_e32 v22, v136, v78
	v_add_f32_e32 v4, v176, v4
	v_fmac_f32_e32 v122, 0xbf59a7d5, v60
	v_add_f32_e32 v5, v12, v5
	v_fma_f32 v12, 0x3dbcf732, v64, -v132
	v_mul_f32_e32 v129, 0xbe8c1d8e, v67
	v_add_f32_e32 v99, v99, v134
	v_add_f32_e32 v11, v150, v11
	v_fmac_f32_e32 v149, 0xbf1a4643, v63
	v_mul_f32_e32 v121, 0xbf59a7d5, v71
	v_mul_f32_e32 v138, 0xbf59a7d5, v72
	v_add_f32_e32 v28, v29, v28
	v_add_f32_e32 v26, v82, v128
	;; [unrolled: 1-line block ×3, first 2 shown]
	v_sub_f32_e32 v22, v130, v81
	v_add_f32_e32 v4, v122, v4
	v_fmac_f32_e32 v124, 0x3dbcf732, v63
	v_add_f32_e32 v5, v12, v5
	v_fma_f32 v12, 0x3f3d2fb0, v67, -v140
	v_mul_f32_e32 v187, 0x3dbcf732, v72
	v_mul_f32_e32 v119, 0x3ee437d1, v72
	v_add_f32_e32 v98, v99, v98
	v_add_f32_e32 v99, v100, v129
	;; [unrolled: 1-line block ×3, first 2 shown]
	v_fmac_f32_e32 v152, 0x3ee437d1, v66
	v_add_f32_e32 v116, v137, v146
	v_mul_f32_e32 v137, 0xbf7ba420, v75
	v_mul_f32_e32 v146, 0xbf7ba420, v76
	v_add_f32_e32 v20, v26, v28
	v_add_f32_e32 v21, v84, v138
	;; [unrolled: 1-line block ×3, first 2 shown]
	v_sub_f32_e32 v19, v121, v83
	v_add_f32_e32 v4, v124, v4
	v_fmac_f32_e32 v126, 0x3f3d2fb0, v66
	v_add_f32_e32 v5, v12, v5
	v_mul_lo_u16 v12, v93, 17
	v_add_f32_e32 v114, v114, v187
	v_mul_f32_e32 v184, 0x3f6eb680, v76
	v_mul_f32_e32 v182, 0xbf59a7d5, v76
	v_add_f32_e32 v98, v99, v98
	v_add_f32_e32 v99, v103, v119
	v_fma_f32 v13, 0xbe8c1d8e, v72, -v148
	v_add_f32_e32 v11, v152, v11
	v_fmac_f32_e32 v151, 0xbe8c1d8e, v71
	v_add_f32_e32 v20, v21, v20
	v_add_f32_e32 v21, v86, v146
	;; [unrolled: 1-line block ×3, first 2 shown]
	v_sub_f32_e32 v18, v137, v85
	v_fma_f32 v14, 0xbf7ba420, v72, -v139
	v_add_f32_e32 v4, v126, v4
	v_fmac_f32_e32 v133, 0xbf7ba420, v71
	v_and_b32_e32 v12, 0xffff, v12
	v_add_f32_e32 v114, v114, v117
	v_add_f32_e32 v104, v118, v182
	v_add_f32_e32 v98, v99, v98
	v_add_f32_e32 v99, v105, v184
	v_add_f32_e32 v10, v13, v10
	v_fma_f32 v13, 0x3dbcf732, v76, -v164
	v_add_f32_e32 v11, v151, v11
	v_fmac_f32_e32 v159, 0x3dbcf732, v75
	v_add_f32_e32 v7, v21, v20
	v_add_f32_e32 v6, v18, v16
	;; [unrolled: 1-line block ×5, first 2 shown]
	v_fma_f32 v15, 0x3ee437d1, v76, -v142
	v_add_f32_e32 v16, v133, v4
	v_fmac_f32_e32 v141, 0x3ee437d1, v75
	v_add_lshl_u32 v12, v50, v12, 3
	v_add_f32_e32 v90, v104, v114
	v_add_f32_e32 v96, v99, v98
	;; [unrolled: 1-line block ×6, first 2 shown]
	ds_write2_b64 v12, v[8:9], v[6:7] offset1:1
	ds_write2_b64 v12, v[95:96], v[89:90] offset0:2 offset1:3
	ds_write2_b64 v12, v[115:116], v[153:154] offset0:4 offset1:5
	;; [unrolled: 1-line block ×7, first 2 shown]
	ds_write_b64 v12, v[2:3] offset:128
.LBB0_7:
	s_or_b32 exec_lo, exec_lo, s0
	v_add_lshl_u32 v95, v50, v93, 3
	s_waitcnt lgkmcnt(0)
	s_barrier
	buffer_gl0_inv
	v_cmp_gt_u16_e64 s0, 17, v93
	v_add_nc_u32_e32 v16, 0x800, v95
	ds_read2_b64 v[12:15], v95 offset1:34
	ds_read2_b64 v[20:23], v95 offset0:221 offset1:255
	ds_read2_b64 v[4:7], v95 offset0:68 offset1:102
	;; [unrolled: 1-line block ×5, first 2 shown]
	s_and_saveexec_b32 s1, s0
	s_cbranch_execz .LBB0_9
; %bb.8:
	v_add_nc_u32_e32 v28, 0x600, v95
	ds_read2_b64 v[36:39], v28 offset0:12 offset1:233
.LBB0_9:
	s_or_b32 exec_lo, exec_lo, s1
	v_add_nc_u16 v31, v93, 34
	v_add_co_u32 v28, s1, 0xffffffef, v93
	v_add_co_ci_u32_e64 v29, null, 0, -1, s1
	v_and_b32_e32 v30, 0xff, v31
	v_cndmask_b32_e64 v28, v28, v93, s0
	v_add_nc_u16 v33, v93, 0x44
	v_cndmask_b32_e64 v29, v29, 0, s0
	v_add_nc_u16 v34, v93, 0x66
	v_mul_lo_u16 v30, 0xf1, v30
	v_add_nc_u16 v41, v93, 0xcc
	v_add_nc_u16 v35, v93, 0x88
	v_and_b32_e32 v42, 0xff, v33
	v_and_b32_e32 v44, 0xff, v34
	v_lshrrev_b16 v43, 12, v30
	v_lshlrev_b64 v[29:30], 3, v[28:29]
	v_add_nc_u16 v40, v93, 0xaa
	v_and_b32_e32 v49, 0xff, v41
	v_and_b32_e32 v45, 0xff, v35
	v_mul_lo_u16 v42, 0xf1, v42
	v_mul_lo_u16 v44, 0xf1, v44
	v_add_co_u32 v29, s1, s2, v29
	v_add_co_ci_u32_e64 v30, s1, s3, v30, s1
	v_and_b32_e32 v47, 0xff, v40
	v_lshrrev_b16 v42, 12, v42
	v_lshrrev_b16 v44, 12, v44
	global_load_dwordx2 v[69:70], v[29:30], off
	v_mul_lo_u16 v29, 0xf1, v49
	v_mul_lo_u16 v45, 0xf1, v45
	;; [unrolled: 1-line block ×5, first 2 shown]
	v_lshrrev_b16 v29, 12, v29
	v_mul_lo_u16 v51, v44, 17
	v_lshrrev_b16 v45, 12, v45
	v_lshrrev_b16 v47, 12, v47
	v_mov_b32_e32 v32, 3
	v_mul_lo_u16 v29, v29, 17
	v_sub_nc_u16 v31, v31, v46
	v_sub_nc_u16 v30, v33, v48
	v_mul_lo_u16 v33, v45, 17
	v_sub_nc_u16 v34, v34, v51
	v_mul_lo_u16 v48, v47, 17
	v_sub_nc_u16 v29, v41, v29
	v_lshlrev_b32_sdwa v46, v32, v31 dst_sel:DWORD dst_unused:UNUSED_PAD src0_sel:DWORD src1_sel:BYTE_0
	v_lshlrev_b32_sdwa v49, v32, v30 dst_sel:DWORD dst_unused:UNUSED_PAD src0_sel:DWORD src1_sel:BYTE_0
	v_sub_nc_u16 v33, v35, v33
	v_lshlrev_b32_sdwa v35, v32, v34 dst_sel:DWORD dst_unused:UNUSED_PAD src0_sel:DWORD src1_sel:BYTE_0
	v_sub_nc_u16 v40, v40, v48
	v_and_b32_e32 v96, 0xff, v29
	s_clause 0x2
	global_load_dwordx2 v[71:72], v46, s[2:3]
	global_load_dwordx2 v[65:66], v49, s[2:3]
	;; [unrolled: 1-line block ×3, first 2 shown]
	v_lshlrev_b32_sdwa v46, v32, v33 dst_sel:DWORD dst_unused:UNUSED_PAD src0_sel:DWORD src1_sel:BYTE_0
	v_lshlrev_b32_sdwa v32, v32, v40 dst_sel:DWORD dst_unused:UNUSED_PAD src0_sel:DWORD src1_sel:BYTE_0
	v_lshlrev_b32_e32 v29, 3, v96
	s_clause 0x1
	global_load_dwordx2 v[63:64], v46, s[2:3]
	global_load_dwordx2 v[61:62], v32, s[2:3]
	v_cmp_lt_u16_e64 s1, 16, v93
	global_load_dwordx2 v[59:60], v29, s[2:3]
	v_mad_u16 v31, v43, 34, v31
	s_load_dwordx4 s[4:7], s[6:7], 0x0
	s_waitcnt vmcnt(0) lgkmcnt(0)
	v_cndmask_b32_e64 v29, 0, 34, s1
	s_barrier
	v_and_b32_e32 v31, 0xff, v31
	buffer_gl0_inv
	v_add_nc_u32_e32 v28, v28, v29
	v_mov_b32_e32 v29, 34
	v_add_lshl_u32 v103, v50, v31, 3
	v_add_lshl_u32 v98, v50, v28, 3
	v_mul_u32_u24_sdwa v28, v42, v29 dst_sel:DWORD dst_unused:UNUSED_PAD src0_sel:WORD_0 src1_sel:DWORD
	v_mul_u32_u24_sdwa v32, v44, v29 dst_sel:DWORD dst_unused:UNUSED_PAD src0_sel:WORD_0 src1_sel:DWORD
	;; [unrolled: 1-line block ×4, first 2 shown]
	v_add_nc_u32_sdwa v28, v28, v30 dst_sel:DWORD dst_unused:UNUSED_PAD src0_sel:DWORD src1_sel:BYTE_0
	v_add_nc_u32_sdwa v30, v32, v34 dst_sel:DWORD dst_unused:UNUSED_PAD src0_sel:DWORD src1_sel:BYTE_0
	;; [unrolled: 1-line block ×4, first 2 shown]
	v_add_lshl_u32 v102, v50, v28, 3
	v_add_lshl_u32 v101, v50, v30, 3
	;; [unrolled: 1-line block ×4, first 2 shown]
	v_mul_f32_e32 v28, v21, v70
	v_mul_f32_e32 v30, v20, v70
	v_fma_f32 v20, v20, v69, -v28
	v_fmac_f32_e32 v30, v21, v69
	v_sub_f32_e32 v20, v12, v20
	v_sub_f32_e32 v21, v13, v30
	v_fma_f32 v12, v12, 2.0, -v20
	v_fma_f32 v13, v13, 2.0, -v21
	ds_write2_b64 v98, v[12:13], v[20:21] offset1:17
	v_mul_f32_e32 v28, v23, v72
	v_mul_f32_e32 v29, v22, v72
	;; [unrolled: 1-line block ×6, first 2 shown]
	v_fma_f32 v22, v22, v71, -v28
	v_mul_f32_e32 v34, v17, v64
	v_mul_f32_e32 v35, v16, v64
	;; [unrolled: 1-line block ×4, first 2 shown]
	v_fmac_f32_e32 v29, v23, v71
	v_fma_f32 v23, v24, v65, -v30
	v_fmac_f32_e32 v31, v25, v65
	v_fma_f32 v24, v26, v67, -v32
	v_fma_f32 v25, v16, v63, -v34
	v_mul_f32_e32 v16, v39, v60
	v_mul_f32_e32 v26, v38, v60
	v_fmac_f32_e32 v33, v27, v67
	v_fmac_f32_e32 v35, v17, v63
	v_fma_f32 v27, v18, v61, -v40
	v_fmac_f32_e32 v41, v19, v61
	v_fma_f32 v28, v38, v59, -v16
	v_fmac_f32_e32 v26, v39, v59
	v_sub_f32_e32 v12, v14, v22
	v_sub_f32_e32 v13, v15, v29
	;; [unrolled: 1-line block ×10, first 2 shown]
	v_fma_f32 v14, v14, 2.0, -v12
	v_fma_f32 v15, v15, 2.0, -v13
	v_sub_f32_e32 v28, v36, v28
	v_sub_f32_e32 v29, v37, v26
	v_fma_f32 v4, v4, 2.0, -v16
	v_fma_f32 v5, v5, 2.0, -v17
	;; [unrolled: 1-line block ×8, first 2 shown]
	ds_write2_b64 v103, v[14:15], v[12:13] offset1:17
	ds_write2_b64 v102, v[4:5], v[16:17] offset1:17
	;; [unrolled: 1-line block ×5, first 2 shown]
	s_and_saveexec_b32 s1, s0
	s_cbranch_execz .LBB0_11
; %bb.10:
	v_add_lshl_u32 v6, v50, v96, 3
	v_fma_f32 v5, v37, 2.0, -v29
	v_fma_f32 v4, v36, 2.0, -v28
	v_add_nc_u32_e32 v6, 0x800, v6
	ds_write2_b64 v6, v[4:5], v[28:29] offset0:152 offset1:169
.LBB0_11:
	s_or_b32 exec_lo, exec_lo, s1
	v_mad_u64_u32 v[8:9], null, 0x60, v93, s[2:3]
	s_waitcnt lgkmcnt(0)
	s_barrier
	buffer_gl0_inv
	v_add_nc_u32_e32 v34, 0x800, v95
	s_clause 0x5
	global_load_dwordx4 v[24:27], v[8:9], off offset:136
	global_load_dwordx4 v[20:23], v[8:9], off offset:152
	;; [unrolled: 1-line block ×6, first 2 shown]
	ds_read2_b64 v[30:33], v95 offset1:34
	ds_read2_b64 v[41:44], v95 offset0:68 offset1:102
	ds_read2_b64 v[49:52], v95 offset0:136 offset1:170
	;; [unrolled: 1-line block ×5, first 2 shown]
	ds_read_b64 v[53:54], v95 offset:3264
	s_waitcnt vmcnt(5) lgkmcnt(6)
	v_mul_f32_e32 v45, v33, v25
	v_mul_f32_e32 v55, v32, v25
	s_waitcnt lgkmcnt(5)
	v_mul_f32_e32 v48, v42, v27
	s_waitcnt vmcnt(4) lgkmcnt(4)
	v_mul_f32_e32 v47, v49, v23
	v_mul_f32_e32 v85, v41, v27
	v_fma_f32 v109, v32, v24, -v45
	v_mul_f32_e32 v86, v44, v21
	v_mul_f32_e32 v88, v50, v23
	s_waitcnt vmcnt(3)
	v_mul_f32_e32 v89, v52, v13
	v_fmac_f32_e32 v55, v33, v24
	v_fma_f32 v110, v41, v26, -v48
	v_fmac_f32_e32 v47, v50, v22
	v_add_f32_e32 v50, v30, v109
	v_mul_f32_e32 v87, v43, v21
	v_mul_f32_e32 v46, v51, v13
	s_waitcnt vmcnt(1) lgkmcnt(2)
	v_mul_f32_e32 v105, v80, v17
	v_fmac_f32_e32 v85, v42, v26
	v_fma_f32 v86, v43, v20, -v86
	v_fma_f32 v48, v51, v12, -v89
	v_add_f32_e32 v51, v31, v55
	v_add_f32_e32 v50, v50, v110
	v_mul_f32_e32 v104, v78, v7
	v_mul_f32_e32 v36, v79, v17
	s_waitcnt lgkmcnt(1)
	v_mul_f32_e32 v106, v82, v19
	s_waitcnt vmcnt(0)
	v_mul_f32_e32 v107, v84, v9
	s_waitcnt lgkmcnt(0)
	v_mul_f32_e32 v108, v54, v11
	v_mul_f32_e32 v39, v53, v11
	v_fmac_f32_e32 v87, v44, v20
	v_fma_f32 v49, v49, v22, -v88
	v_fma_f32 v44, v79, v16, -v105
	v_add_f32_e32 v51, v51, v85
	v_add_f32_e32 v50, v50, v86
	v_mul_f32_e32 v90, v74, v15
	v_mul_f32_e32 v40, v77, v7
	;; [unrolled: 1-line block ×4, first 2 shown]
	v_fma_f32 v45, v77, v6, -v104
	v_fmac_f32_e32 v36, v80, v16
	v_fma_f32 v43, v81, v18, -v106
	v_fma_f32 v42, v83, v8, -v107
	;; [unrolled: 1-line block ×3, first 2 shown]
	v_fmac_f32_e32 v39, v54, v10
	v_add_f32_e32 v81, v49, v44
	v_sub_f32_e32 v83, v49, v44
	v_add_f32_e32 v51, v51, v87
	v_add_f32_e32 v49, v50, v49
	v_mul_f32_e32 v34, v73, v15
	v_mul_f32_e32 v97, v76, v5
	;; [unrolled: 1-line block ×3, first 2 shown]
	v_fmac_f32_e32 v46, v52, v12
	v_fma_f32 v32, v73, v14, -v90
	v_fmac_f32_e32 v40, v78, v6
	v_fmac_f32_e32 v37, v82, v18
	v_fmac_f32_e32 v38, v84, v8
	v_add_f32_e32 v53, v55, v39
	v_sub_f32_e32 v54, v109, v41
	v_sub_f32_e32 v55, v55, v39
	v_add_f32_e32 v82, v47, v36
	v_sub_f32_e32 v84, v47, v36
	v_add_f32_e32 v88, v48, v45
	;; [unrolled: 2-line block ×3, first 2 shown]
	v_add_f32_e32 v48, v49, v48
	v_fmac_f32_e32 v34, v74, v14
	v_fma_f32 v33, v75, v4, -v97
	v_fmac_f32_e32 v35, v76, v4
	v_add_f32_e32 v52, v109, v41
	v_add_f32_e32 v74, v85, v38
	v_sub_f32_e32 v76, v85, v38
	v_add_f32_e32 v89, v46, v40
	v_sub_f32_e32 v97, v46, v40
	v_mul_f32_e32 v85, 0xbeedf032, v55
	v_mul_f32_e32 v104, 0xbeedf032, v54
	;; [unrolled: 1-line block ×4, first 2 shown]
	v_add_f32_e32 v46, v47, v46
	v_add_f32_e32 v48, v48, v32
	;; [unrolled: 1-line block ×3, first 2 shown]
	v_sub_f32_e32 v75, v110, v42
	v_add_f32_e32 v77, v86, v43
	v_add_f32_e32 v78, v87, v37
	v_sub_f32_e32 v79, v86, v43
	v_sub_f32_e32 v80, v87, v37
	v_mul_f32_e32 v106, 0xbf52af12, v54
	v_mul_f32_e32 v108, 0xbf7e222b, v54
	;; [unrolled: 1-line block ×10, first 2 shown]
	v_fma_f32 v86, 0x3f62ad3f, v52, -v85
	v_fmamk_f32 v87, v53, 0x3f62ad3f, v104
	v_fmac_f32_e32 v85, 0x3f62ad3f, v52
	v_fma_f32 v153, 0x3f116cb1, v52, -v105
	v_fma_f32 v155, 0x3df6dbef, v52, -v107
	v_add_f32_e32 v46, v46, v34
	v_add_f32_e32 v48, v48, v33
	v_mul_f32_e32 v114, 0xbf52af12, v75
	v_mul_f32_e32 v115, 0xbf6f5d39, v76
	;; [unrolled: 1-line block ×11, first 2 shown]
	v_fma_f32 v104, 0x3f62ad3f, v53, -v104
	v_fmamk_f32 v154, v53, 0x3f116cb1, v106
	v_fmac_f32_e32 v105, 0x3f116cb1, v52
	v_fma_f32 v106, 0x3f116cb1, v53, -v106
	v_fmamk_f32 v156, v53, 0x3df6dbef, v108
	v_fmac_f32_e32 v107, 0x3df6dbef, v52
	v_fma_f32 v108, 0x3df6dbef, v53, -v108
	v_fma_f32 v157, 0xbeb58ec6, v52, -v109
	v_fmamk_f32 v158, v53, 0xbeb58ec6, v110
	v_fmac_f32_e32 v109, 0xbeb58ec6, v52
	v_fma_f32 v110, 0xbeb58ec6, v53, -v110
	;; [unrolled: 4-line block ×4, first 2 shown]
	v_fma_f32 v53, 0x3f116cb1, v73, -v113
	v_fmac_f32_e32 v113, 0x3f116cb1, v73
	v_fma_f32 v165, 0xbf788fa5, v73, -v117
	v_add_f32_e32 v50, v30, v86
	v_add_f32_e32 v51, v31, v87
	;; [unrolled: 1-line block ×7, first 2 shown]
	v_mul_f32_e32 v123, 0xbf7e222b, v80
	v_mul_f32_e32 v124, 0xbf7e222b, v79
	v_mul_f32_e32 v126, 0xbe750f2a, v79
	v_mul_f32_e32 v128, 0x3f6f5d39, v79
	v_mul_f32_e32 v137, 0x3eedf032, v84
	v_fmamk_f32 v54, v74, 0x3f116cb1, v114
	v_fma_f32 v114, 0x3f116cb1, v74, -v114
	v_fma_f32 v163, 0xbeb58ec6, v73, -v115
	v_fmamk_f32 v164, v74, 0xbeb58ec6, v116
	v_fmac_f32_e32 v115, 0xbeb58ec6, v73
	v_fmamk_f32 v166, v74, 0xbf788fa5, v118
	v_fmac_f32_e32 v117, 0xbf788fa5, v73
	v_fma_f32 v167, 0xbf3f9e67, v73, -v119
	v_fmac_f32_e32 v119, 0xbf3f9e67, v73
	v_fma_f32 v169, 0x3df6dbef, v73, -v121
	;; [unrolled: 2-line block ×4, first 2 shown]
	v_fma_f32 v175, 0xbeb58ec6, v77, -v127
	v_add_f32_e32 v86, v31, v104
	v_add_f32_e32 v104, v31, v154
	;; [unrolled: 1-line block ×16, first 2 shown]
	v_mul_f32_e32 v125, 0xbe750f2a, v80
	v_mul_f32_e32 v129, 0x3eedf032, v80
	;; [unrolled: 1-line block ×12, first 2 shown]
	v_fma_f32 v116, 0xbeb58ec6, v74, -v116
	v_fma_f32 v118, 0xbf788fa5, v74, -v118
	v_fmamk_f32 v168, v74, 0xbf3f9e67, v120
	v_fma_f32 v120, 0xbf3f9e67, v74, -v120
	v_fmamk_f32 v170, v74, 0x3df6dbef, v122
	v_fma_f32 v122, 0x3df6dbef, v74, -v122
	v_fmamk_f32 v172, v74, 0x3f62ad3f, v75
	v_fma_f32 v74, 0x3df6dbef, v77, -v123
	v_fmamk_f32 v75, v78, 0x3df6dbef, v124
	v_fma_f32 v124, 0x3df6dbef, v78, -v124
	v_fmamk_f32 v174, v78, 0xbf788fa5, v126
	v_fmamk_f32 v176, v78, 0xbeb58ec6, v128
	v_fma_f32 v185, 0x3f62ad3f, v81, -v137
	v_add_f32_e32 v105, v30, v105
	v_add_f32_e32 v107, v30, v107
	;; [unrolled: 1-line block ×15, first 2 shown]
	v_mul_f32_e32 v135, 0x3f29c268, v84
	v_mul_f32_e32 v139, 0xbf7e222b, v84
	;; [unrolled: 1-line block ×11, first 2 shown]
	v_fmac_f32_e32 v123, 0x3df6dbef, v77
	v_fma_f32 v173, 0xbf788fa5, v77, -v125
	v_fmac_f32_e32 v125, 0xbf788fa5, v77
	v_fma_f32 v126, 0xbf788fa5, v78, -v126
	v_fmac_f32_e32 v127, 0xbeb58ec6, v77
	v_fma_f32 v128, 0xbeb58ec6, v78, -v128
	v_fma_f32 v177, 0x3f62ad3f, v77, -v129
	v_fmamk_f32 v178, v78, 0x3f62ad3f, v130
	v_fmac_f32_e32 v129, 0x3f62ad3f, v77
	v_fma_f32 v130, 0x3f62ad3f, v78, -v130
	v_fma_f32 v179, 0x3f116cb1, v77, -v131
	v_fmamk_f32 v180, v78, 0x3f116cb1, v132
	v_fmac_f32_e32 v131, 0x3f116cb1, v77
	v_fma_f32 v132, 0x3f116cb1, v78, -v132
	;; [unrolled: 4-line block ×3, first 2 shown]
	v_fma_f32 v78, 0xbeb58ec6, v81, -v133
	v_fmamk_f32 v79, v82, 0xbeb58ec6, v134
	v_fma_f32 v134, 0xbeb58ec6, v82, -v134
	v_fmamk_f32 v184, v82, 0xbf3f9e67, v136
	v_fmamk_f32 v186, v82, 0x3f62ad3f, v138
	v_fma_f32 v195, 0x3f116cb1, v88, -v147
	v_add_f32_e32 v30, v30, v55
	v_add_f32_e32 v52, v163, v87
	;; [unrolled: 1-line block ×22, first 2 shown]
	v_mul_f32_e32 v150, 0x3e750f2a, v90
	v_mul_f32_e32 v151, 0x3eedf032, v97
	;; [unrolled: 1-line block ×3, first 2 shown]
	v_fmac_f32_e32 v133, 0xbeb58ec6, v81
	v_fma_f32 v183, 0xbf3f9e67, v81, -v135
	v_fmac_f32_e32 v135, 0xbf3f9e67, v81
	v_fma_f32 v136, 0xbf3f9e67, v82, -v136
	v_fmac_f32_e32 v137, 0x3f62ad3f, v81
	v_fma_f32 v138, 0x3f62ad3f, v82, -v138
	v_fma_f32 v187, 0x3df6dbef, v81, -v139
	v_fmamk_f32 v188, v82, 0x3df6dbef, v140
	v_fmac_f32_e32 v139, 0x3df6dbef, v81
	v_fma_f32 v140, 0x3df6dbef, v82, -v140
	v_fma_f32 v189, 0xbf788fa5, v81, -v141
	v_fmamk_f32 v190, v82, 0xbf788fa5, v142
	v_fmac_f32_e32 v141, 0xbf788fa5, v81
	v_fma_f32 v142, 0xbf788fa5, v82, -v142
	;; [unrolled: 4-line block ×3, first 2 shown]
	v_fma_f32 v82, 0xbf3f9e67, v88, -v143
	v_fmamk_f32 v83, v89, 0xbf3f9e67, v144
	v_fma_f32 v144, 0xbf3f9e67, v89, -v144
	v_fmamk_f32 v194, v89, 0x3df6dbef, v146
	v_fmamk_f32 v196, v89, 0x3f116cb1, v148
	v_add_f32_e32 v30, v76, v30
	v_add_f32_e32 v55, v126, v55
	;; [unrolled: 1-line block ×20, first 2 shown]
	v_mul_f32_e32 v37, 0xbf6f5d39, v97
	v_fma_f32 v146, 0x3df6dbef, v89, -v146
	v_fma_f32 v148, 0x3f116cb1, v89, -v148
	v_fmamk_f32 v198, v89, 0xbf788fa5, v150
	v_fma_f32 v150, 0xbf788fa5, v89, -v150
	v_fma_f32 v199, 0x3f62ad3f, v88, -v151
	v_add_f32_e32 v112, v122, v112
	v_add_f32_e32 v114, v172, v160
	v_add_f32_e32 v30, v80, v30
	v_add_f32_e32 v31, v77, v31
	v_add_f32_e32 v55, v136, v55
	v_add_f32_e32 v76, v138, v76
	v_add_f32_e32 v77, v187, v85
	v_add_f32_e32 v78, v188, v86
	v_add_f32_e32 v79, v139, v87
	v_add_f32_e32 v80, v140, v104
	v_add_f32_e32 v85, v189, v105
	v_add_f32_e32 v86, v190, v106
	v_add_f32_e32 v87, v141, v107
	v_add_f32_e32 v105, v191, v109
	v_add_f32_e32 v46, v82, v47
	v_add_f32_e32 v47, v83, v49
	v_add_f32_e32 v49, v144, v51
	v_add_f32_e32 v51, v194, v53
	v_add_f32_e32 v53, v196, v74
	v_add_f32_e32 v74, v36, v39
	v_fmamk_f32 v36, v89, 0x3f62ad3f, v152
	v_fmac_f32_e32 v151, 0x3f62ad3f, v88
	v_fma_f32 v39, 0xbeb58ec6, v88, -v37
	v_sub_f32_e32 v82, v34, v35
	v_mul_f32_e32 v145, 0x3f7e222b, v97
	v_mul_f32_e32 v149, 0x3e750f2a, v97
	v_add_f32_e32 v50, v123, v50
	v_add_f32_e32 v52, v173, v52
	;; [unrolled: 1-line block ×11, first 2 shown]
	v_mul_f32_e32 v38, 0xbf6f5d39, v90
	v_add_f32_e32 v80, v36, v86
	v_add_f32_e32 v81, v151, v87
	v_add_f32_e32 v84, v39, v105
	v_add_f32_e32 v86, v32, v33
	v_mul_f32_e32 v39, 0xbe750f2a, v82
	v_sub_f32_e32 v87, v32, v33
	v_fmac_f32_e32 v143, 0xbf3f9e67, v88
	v_fma_f32 v193, 0x3df6dbef, v88, -v145
	v_fmac_f32_e32 v145, 0x3df6dbef, v88
	v_fmac_f32_e32 v147, 0x3f116cb1, v88
	v_fma_f32 v197, 0xbf788fa5, v88, -v149
	v_fmac_f32_e32 v149, 0xbf788fa5, v88
	v_add_f32_e32 v50, v133, v50
	v_add_f32_e32 v52, v183, v52
	;; [unrolled: 1-line block ×6, first 2 shown]
	v_fma_f32 v36, 0x3f62ad3f, v89, -v152
	v_fmamk_f32 v41, v89, 0xbeb58ec6, v38
	v_fmac_f32_e32 v37, 0xbeb58ec6, v88
	v_add_f32_e32 v88, v34, v35
	v_fma_f32 v33, 0xbf788fa5, v86, -v39
	v_mul_f32_e32 v34, 0xbe750f2a, v87
	v_add_f32_e32 v48, v143, v50
	v_add_f32_e32 v50, v193, v52
	;; [unrolled: 1-line block ×9, first 2 shown]
	v_fma_f32 v32, 0xbeb58ec6, v89, -v38
	v_add_f32_e32 v36, v33, v46
	v_fmamk_f32 v33, v88, 0xbf788fa5, v34
	v_mul_f32_e32 v41, 0x3eedf032, v87
	v_add_f32_e32 v30, v37, v30
	v_add_f32_e32 v31, v32, v31
	v_mul_f32_e32 v32, 0x3eedf032, v82
	v_fmac_f32_e32 v39, 0xbf788fa5, v86
	v_add_f32_e32 v37, v33, v47
	v_fmamk_f32 v33, v88, 0x3f62ad3f, v41
	v_mul_f32_e32 v42, 0xbf29c268, v82
	v_fma_f32 v41, 0x3f62ad3f, v88, -v41
	v_mul_f32_e32 v43, 0xbf29c268, v87
	v_fma_f32 v35, 0xbf788fa5, v88, -v34
	v_fma_f32 v38, 0x3f62ad3f, v86, -v32
	v_add_f32_e32 v34, v39, v48
	v_add_f32_e32 v39, v33, v51
	v_fma_f32 v44, 0xbf3f9e67, v86, -v42
	v_add_f32_e32 v33, v41, v40
	v_fmamk_f32 v40, v88, 0xbf3f9e67, v43
	v_mul_f32_e32 v41, 0x3f52af12, v82
	v_add_f32_e32 v38, v38, v50
	v_add_f32_e32 v44, v44, v45
	v_mul_f32_e32 v47, 0x3f52af12, v87
	v_add_f32_e32 v45, v40, v53
	v_fma_f32 v40, 0x3f116cb1, v86, -v41
	v_mul_f32_e32 v50, 0xbf6f5d39, v82
	v_add_f32_e32 v35, v35, v49
	v_fmac_f32_e32 v32, 0x3f62ad3f, v86
	v_fmac_f32_e32 v41, 0x3f116cb1, v86
	v_add_f32_e32 v46, v40, v75
	v_fmamk_f32 v40, v88, 0x3f116cb1, v47
	v_fma_f32 v48, 0x3f116cb1, v88, -v47
	v_fma_f32 v49, 0xbeb58ec6, v86, -v50
	v_mul_f32_e32 v51, 0xbf6f5d39, v87
	v_add_f32_e32 v32, v32, v52
	v_fmac_f32_e32 v42, 0xbf3f9e67, v86
	v_fma_f32 v43, 0xbf3f9e67, v88, -v43
	v_add_f32_e32 v47, v40, v76
	v_add_f32_e32 v40, v41, v77
	;; [unrolled: 1-line block ×4, first 2 shown]
	v_fmamk_f32 v49, v88, 0xbeb58ec6, v51
	v_fmac_f32_e32 v50, 0xbeb58ec6, v86
	v_fma_f32 v51, 0xbeb58ec6, v88, -v51
	v_mul_f32_e32 v52, 0x3f7e222b, v82
	v_mul_f32_e32 v53, 0x3f7e222b, v87
	v_add_f32_e32 v42, v42, v54
	v_add_f32_e32 v43, v43, v55
	;; [unrolled: 1-line block ×4, first 2 shown]
	v_fma_f32 v50, 0x3df6dbef, v86, -v52
	v_fmamk_f32 v51, v88, 0x3df6dbef, v53
	v_fmac_f32_e32 v52, 0x3df6dbef, v86
	v_fma_f32 v53, 0x3df6dbef, v88, -v53
	v_lshl_add_u32 v97, v93, 3, v94
	v_add_f32_e32 v49, v49, v80
	v_add_f32_e32 v50, v50, v84
	;; [unrolled: 1-line block ×5, first 2 shown]
	v_add_nc_u32_e32 v30, 0x400, v97
	v_add_nc_u32_e32 v31, 0x800, v97
	ds_write_b64 v97, v[73:74]
	ds_write2_b64 v97, v[36:37], v[38:39] offset0:34 offset1:68
	ds_write2_b64 v97, v[44:45], v[46:47] offset0:102 offset1:136
	;; [unrolled: 1-line block ×6, first 2 shown]
	s_waitcnt lgkmcnt(0)
	s_barrier
	buffer_gl0_inv
	s_and_saveexec_b32 s8, vcc_lo
	s_cbranch_execz .LBB0_13
; %bb.12:
	s_add_u32 s2, s12, 0xdd0
	s_addc_u32 s3, s13, 0
	v_add_co_u32 v77, s1, s2, v92
	s_clause 0x3
	global_load_dwordx2 v[75:76], v92, s[2:3]
	global_load_dwordx2 v[120:121], v92, s[2:3] offset:208
	global_load_dwordx2 v[122:123], v92, s[2:3] offset:416
	;; [unrolled: 1-line block ×3, first 2 shown]
	v_add_co_ci_u32_e64 v78, null, s3, 0, s1
	v_add_co_u32 v77, s1, 0x800, v77
	v_or_b32_e32 v79, 0xd00, v92
	v_add_co_ci_u32_e64 v78, s1, 0, v78, s1
	s_clause 0xc
	global_load_dwordx2 v[126:127], v92, s[2:3] offset:832
	global_load_dwordx2 v[128:129], v92, s[2:3] offset:1040
	;; [unrolled: 1-line block ×6, first 2 shown]
	global_load_dwordx2 v[138:139], v[77:78], off offset:32
	global_load_dwordx2 v[140:141], v[77:78], off offset:240
	;; [unrolled: 1-line block ×6, first 2 shown]
	global_load_dwordx2 v[150:151], v79, s[2:3]
	ds_read_b64 v[77:78], v97
	s_waitcnt vmcnt(16) lgkmcnt(0)
	v_mul_f32_e32 v79, v78, v76
	v_mul_f32_e32 v80, v77, v76
	v_fma_f32 v79, v77, v75, -v79
	v_fmac_f32_e32 v80, v78, v75
	ds_write_b64 v97, v[79:80]
	ds_read2_b64 v[75:78], v97 offset0:26 offset1:52
	ds_read2_b64 v[79:82], v97 offset0:78 offset1:104
	;; [unrolled: 1-line block ×8, first 2 shown]
	s_waitcnt vmcnt(15) lgkmcnt(7)
	v_mul_f32_e32 v153, v76, v121
	v_mul_f32_e32 v152, v75, v121
	s_waitcnt vmcnt(14)
	v_mul_f32_e32 v154, v78, v123
	v_mul_f32_e32 v121, v77, v123
	s_waitcnt vmcnt(13) lgkmcnt(6)
	v_mul_f32_e32 v155, v80, v125
	v_mul_f32_e32 v123, v79, v125
	s_waitcnt vmcnt(12)
	v_mul_f32_e32 v156, v82, v127
	v_mul_f32_e32 v125, v81, v127
	;; [unrolled: 6-line block ×8, first 2 shown]
	v_fma_f32 v151, v75, v120, -v153
	v_fmac_f32_e32 v152, v76, v120
	v_fma_f32 v120, v77, v122, -v154
	v_fmac_f32_e32 v121, v78, v122
	;; [unrolled: 2-line block ×16, first 2 shown]
	ds_write2_b64 v97, v[151:152], v[120:121] offset0:26 offset1:52
	ds_write2_b64 v97, v[122:123], v[124:125] offset0:78 offset1:104
	ds_write2_b64 v97, v[126:127], v[128:129] offset0:130 offset1:156
	ds_write2_b64 v97, v[130:131], v[132:133] offset0:182 offset1:208
	ds_write2_b64 v30, v[134:135], v[136:137] offset0:106 offset1:132
	ds_write2_b64 v31, v[138:139], v[140:141] offset0:30 offset1:56
	ds_write2_b64 v31, v[142:143], v[144:145] offset0:82 offset1:108
	ds_write2_b64 v31, v[146:147], v[148:149] offset0:134 offset1:160
.LBB0_13:
	s_or_b32 exec_lo, exec_lo, s8
	s_waitcnt lgkmcnt(0)
	s_barrier
	buffer_gl0_inv
	s_and_saveexec_b32 s1, vcc_lo
	s_cbranch_execz .LBB0_15
; %bb.14:
	v_add_nc_u32_e32 v32, 0x800, v97
	v_add_nc_u32_e32 v33, 0x400, v97
	ds_read_b64 v[73:74], v97
	ds_read2_b64 v[28:31], v32 offset0:82 offset1:108
	ds_read2_b64 v[0:3], v32 offset0:134 offset1:160
	;; [unrolled: 1-line block ×8, first 2 shown]
	s_waitcnt lgkmcnt(7)
	v_mov_b32_e32 v57, v30
	v_mov_b32_e32 v58, v31
.LBB0_15:
	s_or_b32 exec_lo, exec_lo, s1
	s_waitcnt lgkmcnt(5)
	v_sub_f32_e32 v120, v37, v3
	v_add_f32_e32 v125, v3, v37
	v_add_f32_e32 v104, v2, v36
	v_sub_f32_e32 v121, v39, v1
	v_sub_f32_e32 v106, v36, v2
	v_mul_f32_e32 v85, 0xbf7ee86f, v120
	v_mul_f32_e32 v86, 0x3dbcf732, v125
	v_add_f32_e32 v105, v0, v38
	v_add_f32_e32 v127, v1, v39
	v_mul_f32_e32 v87, 0xbe3c28d5, v121
	v_fma_f32 v30, 0x3dbcf732, v104, -v85
	v_fmamk_f32 v31, v106, 0xbf7ee86f, v86
	v_mul_f32_e32 v83, 0xbf763a35, v120
	v_sub_f32_e32 v107, v38, v0
	v_fma_f32 v77, 0xbf7ba420, v105, -v87
	v_add_f32_e32 v30, v73, v30
	v_mul_f32_e32 v90, 0xbf7ba420, v127
	v_add_f32_e32 v31, v74, v31
	v_fma_f32 v75, 0xbe8c1d8e, v104, -v83
	v_mul_f32_e32 v172, 0x3f06c442, v121
	v_add_f32_e32 v30, v77, v30
	v_fmamk_f32 v77, v107, 0xbe3c28d5, v90
	s_waitcnt lgkmcnt(4)
	v_add_f32_e32 v129, v58, v45
	v_mul_f32_e32 v84, 0xbe8c1d8e, v125
	v_add_f32_e32 v75, v73, v75
	v_sub_f32_e32 v122, v45, v58
	v_add_f32_e32 v31, v77, v31
	v_fma_f32 v77, 0xbf59a7d5, v105, -v172
	v_sub_f32_e32 v109, v44, v57
	v_mul_f32_e32 v156, 0xbe8c1d8e, v129
	v_fmamk_f32 v76, v106, 0xbf763a35, v84
	v_mul_f32_e32 v157, 0xbf59a7d5, v127
	v_add_f32_e32 v108, v57, v44
	v_add_f32_e32 v75, v77, v75
	v_fmamk_f32 v77, v109, 0x3f763a35, v156
	v_mul_f32_e32 v175, 0x3f2c7751, v122
	v_add_f32_e32 v132, v29, v47
	v_add_f32_e32 v76, v74, v76
	v_mul_f32_e32 v88, 0x3f763a35, v122
	v_fmamk_f32 v78, v107, 0x3f06c442, v157
	v_sub_f32_e32 v123, v47, v29
	v_mul_f32_e32 v161, 0x3f3d2fb0, v129
	v_add_f32_e32 v31, v77, v31
	v_fma_f32 v77, 0x3f3d2fb0, v108, -v175
	v_sub_f32_e32 v111, v46, v28
	v_mul_f32_e32 v167, 0x3f6eb680, v132
	s_waitcnt lgkmcnt(0)
	v_add_f32_e32 v135, v35, v49
	v_fma_f32 v79, 0xbe8c1d8e, v108, -v88
	v_add_f32_e32 v76, v78, v76
	v_add_f32_e32 v110, v28, v46
	v_mul_f32_e32 v89, 0x3eb8f4ab, v123
	v_fmamk_f32 v78, v109, 0x3f2c7751, v161
	v_add_f32_e32 v75, v77, v75
	v_sub_f32_e32 v124, v49, v35
	v_fmamk_f32 v77, v111, 0x3eb8f4ab, v167
	v_mul_f32_e32 v178, 0xbf65296c, v123
	v_sub_f32_e32 v113, v48, v34
	v_mul_f32_e32 v173, 0x3ee437d1, v135
	v_add_f32_e32 v130, v33, v51
	v_add_f32_e32 v30, v79, v30
	v_fma_f32 v79, 0x3f6eb680, v110, -v89
	v_add_f32_e32 v76, v78, v76
	v_mul_f32_e32 v182, 0x3ee437d1, v132
	v_add_f32_e32 v112, v34, v48
	v_fma_f32 v78, 0x3ee437d1, v110, -v178
	v_add_f32_e32 v31, v77, v31
	v_fmamk_f32 v77, v113, 0xbf65296c, v173
	v_sub_f32_e32 v126, v51, v33
	v_mul_f32_e32 v181, 0xbe3c28d5, v124
	v_sub_f32_e32 v115, v50, v32
	v_mul_f32_e32 v177, 0xbf59a7d5, v130
	v_add_f32_e32 v30, v79, v30
	v_mul_f32_e32 v155, 0xbf65296c, v124
	v_fmamk_f32 v79, v111, 0xbf65296c, v182
	v_add_f32_e32 v75, v78, v75
	v_mul_f32_e32 v185, 0xbf7ba420, v135
	v_add_f32_e32 v114, v32, v50
	v_fma_f32 v78, 0xbf7ba420, v112, -v181
	v_add_f32_e32 v31, v77, v31
	v_fmamk_f32 v77, v115, 0xbf06c442, v177
	v_mul_f32_e32 v183, 0x3f7ee86f, v126
	v_add_f32_e32 v133, v43, v53
	v_fma_f32 v80, 0x3ee437d1, v112, -v155
	v_add_f32_e32 v76, v79, v76
	v_mul_f32_e32 v171, 0xbf06c442, v126
	v_fmamk_f32 v79, v113, 0xbe3c28d5, v185
	v_add_f32_e32 v75, v78, v75
	v_add_f32_e32 v31, v77, v31
	v_sub_f32_e32 v128, v53, v43
	v_mul_f32_e32 v187, 0x3dbcf732, v130
	v_fma_f32 v77, 0x3dbcf732, v114, -v183
	v_sub_f32_e32 v117, v52, v42
	v_mul_f32_e32 v179, 0xbf1a4643, v133
	v_add_f32_e32 v30, v80, v30
	v_fma_f32 v80, 0xbf59a7d5, v114, -v171
	v_add_f32_e32 v76, v79, v76
	v_add_f32_e32 v116, v42, v52
	v_mul_f32_e32 v174, 0x3f4c4adb, v128
	v_mul_f32_e32 v184, 0xbeb8f4ab, v128
	v_fmamk_f32 v78, v115, 0x3f7ee86f, v187
	v_add_f32_e32 v75, v77, v75
	v_fmamk_f32 v77, v117, 0x3f4c4adb, v179
	v_mul_f32_e32 v188, 0x3f6eb680, v133
	v_sub_f32_e32 v131, v55, v41
	v_add_f32_e32 v134, v41, v55
	v_add_f32_e32 v30, v80, v30
	v_fma_f32 v79, 0xbf1a4643, v116, -v174
	v_fma_f32 v80, 0x3f6eb680, v116, -v184
	v_add_f32_e32 v76, v78, v76
	v_add_f32_e32 v31, v77, v31
	v_fmamk_f32 v77, v117, 0xbeb8f4ab, v188
	v_add_f32_e32 v118, v40, v54
	v_sub_f32_e32 v119, v54, v40
	v_mul_f32_e32 v176, 0x3f2c7751, v131
	v_mul_f32_e32 v180, 0x3f3d2fb0, v134
	;; [unrolled: 1-line block ×4, first 2 shown]
	v_add_f32_e32 v30, v79, v30
	v_add_f32_e32 v75, v80, v75
	;; [unrolled: 1-line block ×3, first 2 shown]
	v_fma_f32 v77, 0x3f3d2fb0, v118, -v176
	v_fmamk_f32 v78, v119, 0x3f2c7751, v180
	v_fma_f32 v79, 0xbf1a4643, v118, -v186
	v_fmamk_f32 v80, v119, 0xbf4c4adb, v189
	v_add_f32_e32 v77, v77, v30
	v_add_f32_e32 v78, v78, v31
	;; [unrolled: 1-line block ×4, first 2 shown]
	s_barrier
	buffer_gl0_inv
	s_and_saveexec_b32 s1, vcc_lo
	s_cbranch_execz .LBB0_17
; %bb.16:
	v_mul_f32_e32 v79, 0xbf06c442, v106
	v_mul_f32_e32 v80, 0x3f65296c, v107
	;; [unrolled: 1-line block ×5, first 2 shown]
	v_fmamk_f32 v30, v125, 0xbf59a7d5, v79
	v_fmamk_f32 v31, v127, 0x3ee437d1, v80
	v_mul_f32_e32 v153, 0xbeb8f4ab, v113
	v_mul_f32_e32 v154, 0x3f65296c, v121
	v_fma_f32 v136, 0xbf59a7d5, v104, -v147
	v_add_f32_e32 v30, v74, v30
	v_mul_f32_e32 v158, 0xbe3c28d5, v115
	v_mul_f32_e32 v159, 0xbf7ee86f, v122
	v_fma_f32 v137, 0x3ee437d1, v105, -v154
	v_add_f32_e32 v136, v73, v136
	v_add_f32_e32 v30, v31, v30
	v_fmamk_f32 v31, v129, 0x3dbcf732, v81
	v_mul_f32_e32 v160, 0x3f2c7751, v117
	v_mul_f32_e32 v164, 0x3f4c4adb, v123
	v_add_f32_e32 v136, v137, v136
	v_fma_f32 v137, 0x3dbcf732, v108, -v159
	v_add_f32_e32 v30, v31, v30
	v_fmamk_f32 v31, v132, 0xbf1a4643, v82
	v_mul_f32_e32 v165, 0xbf763a35, v119
	v_mul_f32_e32 v166, 0xbeb8f4ab, v124
	v_add_f32_e32 v136, v137, v136
	v_fma_f32 v137, 0xbf1a4643, v110, -v164
	v_add_f32_e32 v30, v31, v30
	v_fmamk_f32 v31, v135, 0x3f6eb680, v153
	v_mul_f32_e32 v143, 0xbf7ba420, v125
	v_fma_f32 v138, 0x3f6eb680, v112, -v166
	v_add_f32_e32 v136, v137, v136
	v_mul_f32_e32 v168, 0xbe3c28d5, v126
	v_add_f32_e32 v30, v31, v30
	v_fmamk_f32 v31, v130, 0xbf7ba420, v158
	v_mul_f32_e32 v137, 0x3f6eb680, v127
	v_add_f32_e32 v136, v138, v136
	v_fma_f32 v139, 0xbf7ba420, v114, -v168
	v_mul_f32_e32 v169, 0x3f2c7751, v128
	v_add_f32_e32 v30, v31, v30
	v_fmamk_f32 v31, v133, 0x3f3d2fb0, v160
	v_fmamk_f32 v140, v107, 0xbeb8f4ab, v137
	v_mul_f32_e32 v138, 0xbf59a7d5, v129
	v_add_f32_e32 v139, v139, v136
	v_fma_f32 v141, 0x3f3d2fb0, v116, -v169
	v_add_f32_e32 v30, v31, v30
	v_fmamk_f32 v31, v134, 0xbe8c1d8e, v165
	v_mul_f32_e32 v221, 0xbf763a35, v131
	v_mul_f32_e32 v136, 0x3f3d2fb0, v132
	v_add_f32_e32 v141, v141, v139
	v_mul_f32_e32 v146, 0xbe3c28d5, v120
	v_add_f32_e32 v31, v31, v30
	v_fmamk_f32 v30, v106, 0x3e3c28d5, v143
	v_fma_f32 v142, 0xbe8c1d8e, v118, -v221
	v_fmamk_f32 v144, v111, 0xbf2c7751, v136
	v_mul_f32_e32 v139, 0xbf1a4643, v135
	v_mul_f32_e32 v148, 0x3eb8f4ab, v121
	v_add_f32_e32 v30, v74, v30
	v_mul_f32_e32 v149, 0xbf06c442, v122
	v_fma_f32 v79, 0xbf59a7d5, v125, -v79
	v_fma_f32 v80, 0x3ee437d1, v127, -v80
	v_fmamk_f32 v150, v105, 0x3f6eb680, v148
	v_add_f32_e32 v30, v140, v30
	v_fmamk_f32 v140, v109, 0x3f06c442, v138
	v_fmamk_f32 v151, v108, 0xbf59a7d5, v149
	v_add_f32_e32 v79, v74, v79
	v_fma_f32 v82, 0xbf1a4643, v132, -v82
	v_fmac_f32_e32 v147, 0xbf59a7d5, v104
	v_add_f32_e32 v140, v140, v30
	v_add_f32_e32 v30, v142, v141
	v_fmamk_f32 v141, v104, 0xbf7ba420, v146
	v_add_f32_e32 v79, v80, v79
	v_fma_f32 v80, 0x3dbcf732, v129, -v81
	v_add_f32_e32 v142, v144, v140
	v_fmamk_f32 v144, v113, 0x3f4c4adb, v139
	v_mul_f32_e32 v140, 0x3ee437d1, v130
	v_add_f32_e32 v145, v73, v141
	v_mul_f32_e32 v141, 0xbe8c1d8e, v133
	v_add_f32_e32 v79, v80, v79
	v_add_f32_e32 v142, v144, v142
	v_fmamk_f32 v144, v115, 0xbf65296c, v140
	v_add_f32_e32 v150, v150, v145
	v_mul_f32_e32 v145, 0x3f2c7751, v123
	v_fmamk_f32 v162, v117, 0x3f763a35, v141
	v_add_f32_e32 v79, v82, v79
	v_add_f32_e32 v144, v144, v142
	;; [unrolled: 1-line block ×3, first 2 shown]
	v_fmamk_f32 v163, v110, 0x3f3d2fb0, v145
	v_mul_f32_e32 v151, 0xbf4c4adb, v124
	v_mul_f32_e32 v142, 0x3dbcf732, v134
	v_add_f32_e32 v81, v162, v144
	v_fma_f32 v82, 0x3f6eb680, v135, -v153
	v_add_f32_e32 v163, v163, v150
	v_fmamk_f32 v170, v112, 0xbf1a4643, v151
	v_mul_f32_e32 v150, 0x3f65296c, v126
	v_fmamk_f32 v144, v119, 0xbf7ee86f, v142
	v_fmac_f32_e32 v154, 0x3ee437d1, v105
	v_add_f32_e32 v79, v82, v79
	v_add_f32_e32 v162, v170, v163
	v_fmamk_f32 v163, v114, 0x3ee437d1, v150
	v_add_f32_e32 v80, v144, v81
	v_mul_f32_e32 v144, 0xbf763a35, v128
	v_fma_f32 v82, 0xbf7ba420, v130, -v158
	v_fmac_f32_e32 v159, 0x3dbcf732, v108
	v_add_f32_e32 v81, v163, v162
	v_add_f32_e32 v162, v73, v147
	v_fmamk_f32 v153, v116, 0xbe8c1d8e, v144
	v_mul_f32_e32 v147, 0x3f7ee86f, v131
	v_add_f32_e32 v82, v82, v79
	v_fma_f32 v158, 0x3f3d2fb0, v133, -v160
	v_fmac_f32_e32 v164, 0xbf1a4643, v110
	v_add_f32_e32 v81, v153, v81
	v_add_f32_e32 v153, v154, v162
	v_fmamk_f32 v154, v118, 0x3dbcf732, v147
	v_mul_f32_e32 v162, 0xbf1a4643, v125
	v_mul_f32_e32 v192, 0xbe8c1d8e, v104
	;; [unrolled: 1-line block ×3, first 2 shown]
	v_add_f32_e32 v153, v159, v153
	v_add_f32_e32 v79, v154, v81
	;; [unrolled: 1-line block ×3, first 2 shown]
	v_fmamk_f32 v82, v106, 0x3f4c4adb, v162
	v_fmac_f32_e32 v166, 0x3f6eb680, v112
	v_add_f32_e32 v153, v164, v153
	v_mul_f32_e32 v195, 0xbf59a7d5, v105
	v_fma_f32 v154, 0xbe8c1d8e, v134, -v165
	v_add_f32_e32 v158, v74, v82
	v_fmamk_f32 v159, v107, 0xbf763a35, v163
	v_mul_f32_e32 v164, 0x3f6eb680, v129
	v_add_f32_e32 v160, v166, v153
	v_fmac_f32_e32 v168, 0xbf7ba420, v114
	v_add_f32_e32 v83, v192, v83
	v_mul_f32_e32 v191, 0xbf7ee86f, v106
	v_mul_f32_e32 v199, 0x3f3d2fb0, v108
	v_add_f32_e32 v82, v154, v81
	v_add_f32_e32 v81, v159, v158
	v_fmamk_f32 v154, v109, 0x3eb8f4ab, v164
	v_mul_f32_e32 v153, 0xbf59a7d5, v132
	v_add_f32_e32 v158, v168, v160
	v_fmac_f32_e32 v169, 0x3f3d2fb0, v116
	v_mul_f32_e32 v168, 0xbf4c4adb, v120
	v_add_f32_e32 v83, v73, v83
	v_add_f32_e32 v172, v195, v172
	v_mul_f32_e32 v194, 0xbe3c28d5, v107
	v_mul_f32_e32 v203, 0x3ee437d1, v110
	v_add_f32_e32 v81, v154, v81
	v_fmamk_f32 v154, v111, 0x3f06c442, v153
	v_mul_f32_e32 v165, 0x3dbcf732, v135
	v_add_f32_e32 v159, v169, v158
	v_fmamk_f32 v158, v104, 0xbf1a4643, v168
	v_mul_f32_e32 v169, 0x3f763a35, v121
	v_add_f32_e32 v172, v172, v83
	v_add_f32_e32 v175, v199, v175
	v_sub_f32_e32 v86, v86, v191
	v_mul_f32_e32 v190, 0x3dbcf732, v104
	v_mul_f32_e32 v198, 0x3f763a35, v109
	;; [unrolled: 1-line block ×3, first 2 shown]
	v_add_f32_e32 v81, v154, v81
	v_fmamk_f32 v154, v113, 0xbf7ee86f, v165
	v_mul_f32_e32 v166, 0x3f3d2fb0, v130
	v_add_f32_e32 v158, v73, v158
	v_fmamk_f32 v160, v105, 0xbe8c1d8e, v169
	v_mul_f32_e32 v170, 0xbeb8f4ab, v122
	v_add_f32_e32 v172, v175, v172
	v_add_f32_e32 v175, v203, v178
	;; [unrolled: 1-line block ×3, first 2 shown]
	v_sub_f32_e32 v90, v90, v194
	v_mul_f32_e32 v152, 0xbf763a35, v106
	v_mul_f32_e32 v193, 0xbf7ba420, v105
	;; [unrolled: 1-line block ×4, first 2 shown]
	v_fmac_f32_e32 v221, 0xbe8c1d8e, v118
	v_add_f32_e32 v154, v154, v81
	v_fmamk_f32 v222, v115, 0x3f2c7751, v166
	v_add_f32_e32 v223, v160, v158
	v_fmamk_f32 v224, v108, 0x3f6eb680, v170
	v_mul_f32_e32 v158, 0xbf06c442, v123
	v_add_f32_e32 v172, v175, v172
	v_add_f32_e32 v175, v207, v181
	;; [unrolled: 1-line block ×3, first 2 shown]
	v_sub_f32_e32 v156, v156, v198
	v_add_f32_e32 v85, v190, v85
	v_mul_f32_e32 v196, 0x3f06c442, v107
	v_mul_f32_e32 v197, 0xbe8c1d8e, v108
	;; [unrolled: 1-line block ×4, first 2 shown]
	v_add_f32_e32 v81, v221, v159
	v_add_f32_e32 v221, v222, v154
	;; [unrolled: 1-line block ×3, first 2 shown]
	v_fmamk_f32 v222, v110, 0xbf59a7d5, v158
	v_mul_f32_e32 v159, 0x3f7ee86f, v124
	v_sub_f32_e32 v84, v84, v152
	v_add_f32_e32 v172, v175, v172
	v_add_f32_e32 v175, v211, v183
	;; [unrolled: 1-line block ×3, first 2 shown]
	v_sub_f32_e32 v156, v167, v202
	v_add_f32_e32 v85, v73, v85
	v_add_f32_e32 v87, v193, v87
	v_mul_f32_e32 v200, 0x3f2c7751, v109
	v_mul_f32_e32 v201, 0x3f6eb680, v110
	;; [unrolled: 1-line block ×4, first 2 shown]
	v_add_f32_e32 v222, v222, v154
	v_fmamk_f32 v224, v112, 0x3dbcf732, v159
	v_add_f32_e32 v84, v74, v84
	v_sub_f32_e32 v157, v157, v196
	v_add_f32_e32 v167, v175, v172
	v_add_f32_e32 v172, v215, v184
	;; [unrolled: 1-line block ×3, first 2 shown]
	v_sub_f32_e32 v156, v173, v206
	v_add_f32_e32 v87, v87, v85
	v_add_f32_e32 v88, v197, v88
	v_mul_f32_e32 v204, 0xbf65296c, v111
	v_mul_f32_e32 v205, 0x3ee437d1, v112
	v_add_f32_e32 v222, v224, v222
	v_add_f32_e32 v224, v157, v84
	v_sub_f32_e32 v161, v161, v200
	v_add_f32_e32 v167, v172, v167
	v_add_f32_e32 v172, v219, v186
	;; [unrolled: 1-line block ×3, first 2 shown]
	v_sub_f32_e32 v156, v177, v210
	v_mul_f32_e32 v173, 0x3ee437d1, v125
	v_add_f32_e32 v87, v88, v87
	v_add_f32_e32 v88, v201, v89
	v_mul_f32_e32 v208, 0xbe3c28d5, v113
	v_mul_f32_e32 v209, 0xbf59a7d5, v114
	v_add_f32_e32 v192, v161, v224
	v_sub_f32_e32 v182, v182, v204
	v_add_f32_e32 v85, v172, v167
	v_add_f32_e32 v89, v156, v90
	v_fmamk_f32 v90, v106, 0x3f65296c, v173
	v_mul_f32_e32 v167, 0xbf1a4643, v127
	v_add_f32_e32 v87, v88, v87
	v_add_f32_e32 v88, v205, v155
	v_mul_f32_e32 v212, 0x3f7ee86f, v115
	v_mul_f32_e32 v213, 0xbf1a4643, v116
	;; [unrolled: 1-line block ×3, first 2 shown]
	v_add_f32_e32 v182, v182, v192
	v_sub_f32_e32 v185, v185, v208
	v_add_f32_e32 v90, v74, v90
	v_fmamk_f32 v155, v107, 0x3f4c4adb, v167
	v_mul_f32_e32 v172, 0xbf7ba420, v129
	v_add_f32_e32 v87, v88, v87
	v_add_f32_e32 v88, v209, v171
	v_mul_f32_e32 v216, 0xbeb8f4ab, v117
	v_mul_f32_e32 v218, 0x3f2c7751, v119
	v_add_f32_e32 v182, v185, v182
	v_sub_f32_e32 v185, v187, v212
	v_sub_f32_e32 v156, v179, v214
	v_add_f32_e32 v90, v155, v90
	v_fmamk_f32 v155, v109, 0xbe3c28d5, v172
	v_mul_f32_e32 v171, 0xbe8c1d8e, v132
	v_add_f32_e32 v87, v88, v87
	v_add_f32_e32 v174, v213, v174
	v_mul_f32_e32 v217, 0x3f3d2fb0, v118
	v_mul_f32_e32 v220, 0xbf4c4adb, v119
	v_add_f32_e32 v178, v185, v182
	v_sub_f32_e32 v182, v188, v216
	v_add_f32_e32 v89, v156, v89
	v_sub_f32_e32 v156, v180, v218
	v_add_f32_e32 v90, v155, v90
	v_fmamk_f32 v155, v111, 0xbf763a35, v171
	v_mul_f32_e32 v175, 0x3f3d2fb0, v135
	v_add_f32_e32 v87, v174, v87
	v_mul_f32_e32 v174, 0xbf65296c, v120
	v_add_f32_e32 v178, v182, v178
	v_sub_f32_e32 v181, v189, v220
	v_add_f32_e32 v88, v156, v89
	v_add_f32_e32 v89, v155, v90
	v_fmamk_f32 v90, v113, 0xbf2c7751, v175
	v_mul_f32_e32 v177, 0x3f6eb680, v130
	v_add_f32_e32 v155, v217, v176
	v_fmamk_f32 v156, v104, 0x3ee437d1, v174
	v_mul_f32_e32 v176, 0xbf4c4adb, v121
	v_add_f32_e32 v86, v181, v178
	v_add_f32_e32 v89, v90, v89
	v_fmamk_f32 v90, v115, 0x3eb8f4ab, v177
	v_mul_f32_e32 v178, 0x3dbcf732, v133
	v_add_f32_e32 v156, v73, v156
	v_fmamk_f32 v179, v105, 0xbf1a4643, v176
	v_mul_f32_e32 v180, 0x3e3c28d5, v122
	v_add_f32_e32 v89, v90, v89
	v_fmamk_f32 v90, v117, 0x3f7ee86f, v178
	v_add_f32_e32 v87, v155, v87
	v_add_f32_e32 v155, v179, v156
	v_fmamk_f32 v156, v108, 0xbf7ba420, v180
	v_mul_f32_e32 v179, 0x3f763a35, v123
	v_mul_f32_e32 v160, 0xbf7ba420, v133
	v_add_f32_e32 v89, v90, v89
	v_mul_f32_e32 v182, 0x3f3d2fb0, v125
	v_add_f32_e32 v90, v156, v155
	v_fmamk_f32 v155, v110, 0xbe8c1d8e, v179
	v_mul_f32_e32 v183, 0x3f2c7751, v124
	v_fmamk_f32 v223, v117, 0x3e3c28d5, v160
	v_mul_f32_e32 v152, 0x3ee437d1, v134
	v_mul_f32_e32 v154, 0xbf2c7751, v126
	v_fmamk_f32 v184, v106, 0x3f2c7751, v182
	v_mul_f32_e32 v185, 0x3dbcf732, v127
	v_add_f32_e32 v90, v155, v90
	v_fmamk_f32 v155, v112, 0x3f3d2fb0, v183
	v_mul_f32_e32 v186, 0xbeb8f4ab, v126
	v_add_f32_e32 v196, v223, v221
	v_fmamk_f32 v221, v119, 0xbf65296c, v152
	v_fmamk_f32 v223, v114, 0x3f3d2fb0, v154
	v_mul_f32_e32 v157, 0xbe3c28d5, v128
	v_mul_f32_e32 v181, 0xbf59a7d5, v134
	v_add_f32_e32 v184, v74, v184
	v_fmamk_f32 v187, v107, 0x3f7ee86f, v185
	v_mul_f32_e32 v188, 0xbf1a4643, v129
	v_add_f32_e32 v90, v155, v90
	v_fmamk_f32 v155, v114, 0x3f6eb680, v186
	v_mul_f32_e32 v189, 0xbf7ee86f, v128
	v_add_f32_e32 v84, v221, v196
	v_add_f32_e32 v196, v223, v222
	v_fmamk_f32 v200, v116, 0xbf7ba420, v157
	v_mul_f32_e32 v161, 0x3f65296c, v131
	v_fmamk_f32 v156, v119, 0x3f06c442, v181
	v_add_f32_e32 v184, v187, v184
	v_fmamk_f32 v187, v109, 0x3f4c4adb, v188
	v_mul_f32_e32 v190, 0xbf7ba420, v132
	v_add_f32_e32 v155, v155, v90
	v_fmamk_f32 v191, v116, 0x3dbcf732, v189
	v_add_f32_e32 v192, v200, v196
	v_fmamk_f32 v195, v118, 0x3ee437d1, v161
	v_add_f32_e32 v90, v156, v89
	v_add_f32_e32 v89, v187, v184
	v_fmamk_f32 v156, v111, 0x3e3c28d5, v190
	v_mul_f32_e32 v184, 0xbf59a7d5, v135
	v_add_f32_e32 v155, v191, v155
	v_mul_f32_e32 v191, 0xbf2c7751, v120
	v_add_f32_e32 v83, v195, v192
	;; [unrolled: 2-line block ×3, first 2 shown]
	v_fmamk_f32 v156, v113, 0xbf06c442, v184
	v_mul_f32_e32 v192, 0xbe8c1d8e, v130
	v_fmamk_f32 v194, v104, 0x3f3d2fb0, v191
	v_mul_f32_e32 v195, 0xbf7ee86f, v121
	v_mul_f32_e32 v125, 0x3f6eb680, v125
	v_add_f32_e32 v37, v37, v74
	v_fmamk_f32 v193, v118, 0xbf59a7d5, v187
	v_add_f32_e32 v89, v156, v89
	v_fmamk_f32 v156, v115, 0xbf763a35, v192
	v_mul_f32_e32 v196, 0x3ee437d1, v133
	v_add_f32_e32 v194, v73, v194
	v_fmamk_f32 v197, v105, 0x3dbcf732, v195
	v_fmamk_f32 v201, v106, 0x3eb8f4ab, v125
	v_mul_f32_e32 v127, 0x3f3d2fb0, v127
	v_add_f32_e32 v37, v39, v37
	v_add_f32_e32 v36, v36, v73
	;; [unrolled: 1-line block ×3, first 2 shown]
	v_fmamk_f32 v199, v117, 0xbf65296c, v196
	v_add_f32_e32 v89, v193, v155
	v_add_f32_e32 v155, v197, v194
	v_mul_f32_e32 v197, 0x3f6eb680, v134
	v_add_f32_e32 v201, v74, v201
	v_fmamk_f32 v203, v107, 0x3f2c7751, v127
	v_mul_f32_e32 v129, 0x3ee437d1, v129
	v_add_f32_e32 v37, v45, v37
	v_add_f32_e32 v36, v38, v36
	;; [unrolled: 1-line block ×3, first 2 shown]
	v_fmamk_f32 v200, v119, 0xbeb8f4ab, v197
	v_add_f32_e32 v201, v203, v201
	v_fmamk_f32 v203, v109, 0x3f65296c, v129
	v_mul_f32_e32 v132, 0x3dbcf732, v132
	v_add_f32_e32 v37, v47, v37
	v_add_f32_e32 v36, v44, v36
	;; [unrolled: 1-line block ×4, first 2 shown]
	v_fmamk_f32 v201, v111, 0x3f7ee86f, v132
	v_mul_f32_e32 v135, 0xbe8c1d8e, v135
	v_mul_f32_e32 v45, 0xbeb8f4ab, v120
	v_add_f32_e32 v37, v49, v37
	v_add_f32_e32 v36, v46, v36
	;; [unrolled: 1-line block ×3, first 2 shown]
	v_fmamk_f32 v201, v113, 0x3f763a35, v135
	v_mul_f32_e32 v39, 0xbf1a4643, v130
	v_fmamk_f32 v44, v104, 0x3f6eb680, v45
	v_mul_f32_e32 v47, 0xbf2c7751, v121
	v_add_f32_e32 v37, v51, v37
	v_add_f32_e32 v36, v48, v36
	;; [unrolled: 1-line block ×3, first 2 shown]
	v_fmamk_f32 v38, v115, 0x3f4c4adb, v39
	v_mul_f32_e32 v46, 0xbf59a7d5, v133
	v_add_f32_e32 v44, v73, v44
	v_fmamk_f32 v49, v105, 0x3f3d2fb0, v47
	v_mul_f32_e32 v48, 0xbf65296c, v122
	v_add_f32_e32 v37, v53, v37
	v_add_f32_e32 v36, v50, v36
	;; [unrolled: 1-line block ×3, first 2 shown]
	v_fmamk_f32 v51, v117, 0x3f06c442, v46
	v_add_f32_e32 v44, v49, v44
	v_fmamk_f32 v49, v108, 0x3ee437d1, v48
	v_mul_f32_e32 v50, 0xbf7ee86f, v123
	v_add_f32_e32 v37, v55, v37
	v_add_f32_e32 v36, v52, v36
	;; [unrolled: 1-line block ×4, first 2 shown]
	v_fmamk_f32 v49, v110, 0x3dbcf732, v50
	v_mul_f32_e32 v51, 0xbf763a35, v124
	v_add_f32_e32 v37, v41, v37
	v_add_f32_e32 v36, v54, v36
	v_mul_f32_e32 v41, 0xbf7ba420, v134
	v_add_f32_e32 v44, v49, v44
	v_fmamk_f32 v49, v112, 0xbe8c1d8e, v51
	v_add_f32_e32 v37, v43, v37
	v_add_f32_e32 v36, v40, v36
	v_mul_f32_e32 v40, 0xbf4c4adb, v126
	v_fmamk_f32 v43, v119, 0x3e3c28d5, v41
	v_add_f32_e32 v44, v49, v44
	v_add_f32_e32 v37, v33, v37
	;; [unrolled: 1-line block ×3, first 2 shown]
	v_fmamk_f32 v42, v114, 0xbf1a4643, v40
	v_mul_f32_e32 v49, 0xbf06c442, v128
	v_add_f32_e32 v33, v43, v38
	v_add_f32_e32 v35, v35, v37
	;; [unrolled: 1-line block ×4, first 2 shown]
	v_fmamk_f32 v37, v116, 0xbf59a7d5, v49
	v_mul_f32_e32 v38, 0xbe3c28d5, v131
	v_add_f32_e32 v29, v29, v35
	v_add_f32_e32 v32, v34, v32
	v_fmac_f32_e32 v143, 0xbe3c28d5, v106
	v_add_f32_e32 v34, v37, v36
	v_fmamk_f32 v35, v118, 0xbf7ba420, v38
	v_add_f32_e32 v29, v58, v29
	v_add_f32_e32 v28, v28, v32
	v_add_f32_e32 v36, v74, v143
	v_fmac_f32_e32 v137, 0x3eb8f4ab, v107
	v_add_f32_e32 v32, v35, v34
	v_fma_f32 v34, 0xbf7ba420, v104, -v146
	v_add_f32_e32 v1, v1, v29
	v_add_f32_e32 v28, v57, v28
	v_add_f32_e32 v29, v137, v36
	v_fmac_f32_e32 v138, 0xbf06c442, v109
	v_add_f32_e32 v34, v73, v34
	v_fma_f32 v35, 0x3f6eb680, v105, -v148
	;; [unrolled: 6-line block ×3, first 2 shown]
	v_fmac_f32_e32 v162, 0xbf4c4adb, v106
	v_add_f32_e32 v0, v2, v0
	v_add_f32_e32 v2, v136, v3
	v_fmac_f32_e32 v139, 0xbf4c4adb, v113
	v_add_f32_e32 v3, v29, v28
	v_add_f32_e32 v29, v74, v162
	v_fmac_f32_e32 v163, 0x3f763a35, v107
	v_fma_f32 v28, 0x3f3d2fb0, v110, -v145
	v_add_f32_e32 v2, v139, v2
	v_fmac_f32_e32 v140, 0x3f65296c, v115
	v_fmac_f32_e32 v164, 0xbeb8f4ab, v109
	v_add_f32_e32 v29, v163, v29
	v_add_f32_e32 v3, v28, v3
	v_fma_f32 v28, 0xbf1a4643, v112, -v151
	v_add_f32_e32 v2, v140, v2
	v_fmac_f32_e32 v141, 0xbf763a35, v117
	v_add_f32_e32 v29, v164, v29
	v_fmac_f32_e32 v153, 0xbf06c442, v111
	v_fma_f32 v34, 0xbf1a4643, v104, -v168
	v_add_f32_e32 v3, v28, v3
	v_fma_f32 v28, 0x3ee437d1, v114, -v150
	v_add_f32_e32 v2, v141, v2
	v_fmac_f32_e32 v142, 0x3f7ee86f, v119
	v_add_f32_e32 v29, v153, v29
	v_fmac_f32_e32 v165, 0x3f7ee86f, v113
	v_add_f32_e32 v34, v73, v34
	v_fma_f32 v36, 0xbe8c1d8e, v105, -v169
	v_add_f32_e32 v28, v28, v3
	v_fma_f32 v35, 0xbe8c1d8e, v116, -v144
	v_add_f32_e32 v3, v142, v2
	v_add_f32_e32 v2, v165, v29
	v_fmac_f32_e32 v166, 0xbf2c7751, v115
	v_add_f32_e32 v29, v36, v34
	v_fma_f32 v34, 0x3f6eb680, v108, -v170
	v_add_f32_e32 v28, v35, v28
	v_fma_f32 v35, 0x3dbcf732, v118, -v147
	v_add_f32_e32 v36, v166, v2
	v_fmac_f32_e32 v160, 0xbe3c28d5, v117
	v_add_f32_e32 v29, v34, v29
	v_fma_f32 v34, 0xbf59a7d5, v110, -v158
	v_add_f32_e32 v2, v35, v28
	v_fma_f32 v37, 0xbf1a4643, v105, -v176
	;; [unrolled: 2-line block ×4, first 2 shown]
	v_fmac_f32_e32 v152, 0x3f65296c, v119
	v_fma_f32 v42, 0xbf7ba420, v116, -v157
	v_add_f32_e32 v36, v73, v36
	v_fmac_f32_e32 v182, 0xbf2c7751, v106
	v_add_f32_e32 v29, v34, v29
	v_fma_f32 v34, 0x3f3d2fb0, v114, -v154
	v_fmac_f32_e32 v185, 0xbf7ee86f, v107
	v_add_f32_e32 v36, v37, v36
	v_fma_f32 v37, 0xbf7ba420, v108, -v180
	v_mul_f32_e32 v198, 0xbf4c4adb, v122
	v_add_f32_e32 v34, v34, v29
	v_add_f32_e32 v29, v152, v28
	v_mul_f32_e32 v194, 0xbe3c28d5, v123
	v_fma_f32 v43, 0xbf59a7d5, v118, -v187
	v_fmac_f32_e32 v173, 0xbf65296c, v106
	v_add_f32_e32 v28, v42, v34
	v_add_f32_e32 v34, v37, v36
	v_fma_f32 v36, 0xbe8c1d8e, v110, -v179
	v_fma_f32 v37, 0x3ee437d1, v118, -v161
	v_add_f32_e32 v42, v74, v182
	v_fmac_f32_e32 v125, 0xbeb8f4ab, v106
	v_fmamk_f32 v193, v108, 0xbf1a4643, v198
	v_add_f32_e32 v34, v36, v34
	v_fma_f32 v36, 0x3f3d2fb0, v112, -v183
	v_add_f32_e32 v28, v37, v28
	v_add_f32_e32 v37, v185, v42
	v_fma_f32 v42, 0x3f3d2fb0, v104, -v191
	v_add_f32_e32 v35, v74, v173
	v_add_f32_e32 v34, v36, v34
	v_fma_f32 v36, 0x3f6eb680, v114, -v186
	v_fmac_f32_e32 v167, 0xbf4c4adb, v107
	v_add_f32_e32 v44, v74, v125
	v_fmac_f32_e32 v127, 0xbf2c7751, v107
	v_add_f32_e32 v155, v193, v155
	v_add_f32_e32 v34, v36, v34
	v_fma_f32 v36, 0x3dbcf732, v116, -v189
	v_fmamk_f32 v193, v110, 0xbf7ba420, v194
	v_mul_f32_e32 v199, 0x3f06c442, v124
	v_add_f32_e32 v35, v167, v35
	v_fmac_f32_e32 v172, 0x3e3c28d5, v109
	v_add_f32_e32 v34, v36, v34
	v_add_f32_e32 v36, v73, v42
	v_fma_f32 v42, 0x3dbcf732, v105, -v195
	v_fmac_f32_e32 v188, 0xbf4c4adb, v109
	v_add_f32_e32 v44, v127, v44
	v_add_f32_e32 v34, v43, v34
	v_fma_f32 v43, 0x3f6eb680, v104, -v45
	v_add_f32_e32 v36, v42, v36
	v_fma_f32 v42, 0xbf1a4643, v108, -v198
	v_fmac_f32_e32 v129, 0xbf65296c, v109
	v_add_f32_e32 v155, v193, v155
	v_fmamk_f32 v193, v112, 0xbf59a7d5, v199
	v_mul_f32_e32 v202, 0x3f763a35, v126
	v_add_f32_e32 v36, v42, v36
	v_fma_f32 v42, 0xbf7ba420, v110, -v194
	v_add_f32_e32 v35, v172, v35
	v_fmac_f32_e32 v171, 0x3f763a35, v111
	v_add_f32_e32 v37, v188, v37
	v_fmac_f32_e32 v190, 0xbe3c28d5, v111
	v_add_f32_e32 v36, v42, v36
	v_add_f32_e32 v42, v73, v43
	v_fma_f32 v43, 0x3f3d2fb0, v105, -v47
	v_add_f32_e32 v44, v129, v44
	v_fmac_f32_e32 v132, 0xbf7ee86f, v111
	v_add_f32_e32 v155, v193, v155
	v_fmamk_f32 v193, v114, 0xbe8c1d8e, v202
	v_add_f32_e32 v42, v43, v42
	v_fma_f32 v43, 0x3ee437d1, v108, -v48
	v_mul_f32_e32 v204, 0x3f65296c, v128
	v_add_f32_e32 v35, v171, v35
	v_fmac_f32_e32 v175, 0x3f2c7751, v113
	v_add_f32_e32 v37, v190, v37
	v_add_f32_e32 v42, v43, v42
	v_fma_f32 v43, 0x3dbcf732, v110, -v50
	v_fmac_f32_e32 v184, 0x3f06c442, v113
	v_fma_f32 v45, 0xbf59a7d5, v112, -v199
	v_add_f32_e32 v44, v132, v44
	v_fmac_f32_e32 v135, 0xbf763a35, v113
	v_add_f32_e32 v42, v43, v42
	v_fma_f32 v43, 0xbe8c1d8e, v112, -v51
	v_add_f32_e32 v155, v193, v155
	v_fmamk_f32 v193, v116, 0x3ee437d1, v204
	v_add_f32_e32 v35, v175, v35
	v_fmac_f32_e32 v177, 0xbeb8f4ab, v115
	v_add_f32_e32 v37, v184, v37
	v_fmac_f32_e32 v192, 0x3f763a35, v115
	v_add_f32_e32 v36, v45, v36
	v_fma_f32 v45, 0xbe8c1d8e, v114, -v202
	v_add_f32_e32 v44, v135, v44
	v_fmac_f32_e32 v39, 0xbf4c4adb, v115
	v_add_f32_e32 v42, v43, v42
	v_fma_f32 v40, 0xbf1a4643, v114, -v40
	v_mul_lo_u16 v43, v93, 17
	v_add_f32_e32 v155, v193, v155
	v_mul_f32_e32 v193, 0x3eb8f4ab, v131
	v_add_f32_e32 v35, v177, v35
	v_fmac_f32_e32 v178, 0xbf7ee86f, v117
	v_add_f32_e32 v37, v192, v37
	v_fmac_f32_e32 v196, 0x3f65296c, v117
	v_add_f32_e32 v36, v45, v36
	v_fma_f32 v45, 0x3ee437d1, v116, -v204
	v_add_f32_e32 v39, v39, v44
	v_fmac_f32_e32 v46, 0xbf06c442, v117
	v_add_f32_e32 v40, v40, v42
	v_fma_f32 v42, 0xbf59a7d5, v116, -v49
	v_and_b32_e32 v43, 0xffff, v43
	v_fmamk_f32 v130, v118, 0x3f6eb680, v193
	v_add_f32_e32 v35, v178, v35
	v_fmac_f32_e32 v181, 0xbf06c442, v119
	v_add_f32_e32 v37, v196, v37
	v_fmac_f32_e32 v197, 0x3eb8f4ab, v119
	v_add_f32_e32 v36, v45, v36
	v_fma_f32 v44, 0x3f6eb680, v118, -v193
	v_add_f32_e32 v39, v46, v39
	v_fmac_f32_e32 v41, 0xbe3c28d5, v119
	v_add_f32_e32 v40, v42, v40
	v_fma_f32 v38, 0xbf7ba420, v118, -v38
	v_lshl_add_u32 v42, v43, 3, v94
	v_add_f32_e32 v155, v130, v155
	v_add_f32_e32 v35, v181, v35
	v_add_f32_e32 v37, v197, v37
	v_add_f32_e32 v36, v44, v36
	v_add_f32_e32 v39, v41, v39
	v_add_f32_e32 v38, v38, v40
	ds_write2_b64 v42, v[0:1], v[32:33] offset1:1
	ds_write2_b64 v42, v[155:156], v[89:90] offset0:2 offset1:3
	ds_write2_b64 v42, v[87:88], v[85:86] offset0:4 offset1:5
	;; [unrolled: 1-line block ×7, first 2 shown]
	ds_write_b64 v42, v[38:39] offset:128
.LBB0_17:
	s_or_b32 exec_lo, exec_lo, s1
	v_add_nc_u32_e32 v36, 0x800, v95
	s_waitcnt lgkmcnt(0)
	s_barrier
	buffer_gl0_inv
	ds_read2_b64 v[32:35], v95 offset1:34
	ds_read2_b64 v[44:47], v95 offset0:221 offset1:255
	ds_read2_b64 v[0:3], v95 offset0:68 offset1:102
	;; [unrolled: 1-line block ×5, first 2 shown]
	s_and_saveexec_b32 s1, s0
	s_cbranch_execz .LBB0_19
; %bb.18:
	ds_read_b64 v[75:76], v95 offset:1632
	ds_read_b64 v[77:78], v95 offset:3400
.LBB0_19:
	s_or_b32 exec_lo, exec_lo, s1
	s_waitcnt lgkmcnt(4)
	v_mul_f32_e32 v48, v70, v45
	v_mul_f32_e32 v49, v70, v44
	;; [unrolled: 1-line block ×4, first 2 shown]
	s_waitcnt lgkmcnt(0)
	v_mul_f32_e32 v52, v64, v37
	v_fmac_f32_e32 v48, v69, v44
	v_fma_f32 v44, v69, v45, -v49
	v_mul_f32_e32 v45, v66, v41
	v_fmac_f32_e32 v50, v71, v46
	v_fma_f32 v46, v71, v47, -v51
	v_mul_f32_e32 v47, v66, v40
	v_mul_f32_e32 v49, v68, v43
	;; [unrolled: 1-line block ×3, first 2 shown]
	v_fmac_f32_e32 v45, v65, v40
	v_mul_f32_e32 v40, v64, v36
	v_fma_f32 v41, v65, v41, -v47
	v_fmac_f32_e32 v49, v67, v42
	v_mul_f32_e32 v47, v62, v39
	v_mul_f32_e32 v42, v62, v38
	v_fma_f32 v43, v67, v43, -v51
	v_fmac_f32_e32 v52, v63, v36
	v_sub_f32_e32 v36, v32, v48
	v_fma_f32 v48, v63, v37, -v40
	v_sub_f32_e32 v37, v33, v44
	v_fmac_f32_e32 v47, v61, v38
	v_fma_f32 v51, v61, v39, -v42
	v_sub_f32_e32 v38, v34, v50
	v_sub_f32_e32 v39, v35, v46
	;; [unrolled: 1-line block ×8, first 2 shown]
	v_fma_f32 v32, v32, 2.0, -v36
	v_fma_f32 v33, v33, 2.0, -v37
	v_sub_f32_e32 v46, v30, v47
	v_sub_f32_e32 v47, v31, v51
	v_fma_f32 v34, v34, 2.0, -v38
	v_fma_f32 v35, v35, 2.0, -v39
	;; [unrolled: 1-line block ×10, first 2 shown]
	s_barrier
	buffer_gl0_inv
	ds_write2_b64 v98, v[32:33], v[36:37] offset1:17
	ds_write2_b64 v103, v[34:35], v[38:39] offset1:17
	;; [unrolled: 1-line block ×6, first 2 shown]
	s_and_saveexec_b32 s1, s0
	s_cbranch_execz .LBB0_21
; %bb.20:
	v_mul_f32_e32 v0, v60, v77
	v_mul_f32_e32 v2, v60, v78
	v_lshl_add_u32 v28, v96, 3, v94
	v_fma_f32 v0, v59, v78, -v0
	v_fmac_f32_e32 v2, v59, v77
	v_add_nc_u32_e32 v28, 0x800, v28
	v_sub_f32_e32 v1, v76, v0
	v_sub_f32_e32 v0, v75, v2
	v_fma_f32 v3, v76, 2.0, -v1
	v_fma_f32 v2, v75, 2.0, -v0
	ds_write2_b64 v28, v[2:3], v[0:1] offset0:152 offset1:169
.LBB0_21:
	s_or_b32 exec_lo, exec_lo, s1
	s_waitcnt lgkmcnt(0)
	s_barrier
	buffer_gl0_inv
	ds_read2_b64 v[28:31], v95 offset1:34
	ds_read2_b64 v[0:3], v95 offset0:68 offset1:102
	ds_read2_b64 v[32:35], v95 offset0:136 offset1:170
	v_add_nc_u32_e32 v44, 0x800, v95
	ds_read2_b64 v[36:39], v95 offset0:204 offset1:238
	ds_read_b64 v[48:49], v95 offset:3264
	ds_read2_b64 v[40:43], v44 offset0:16 offset1:50
	ds_read2_b64 v[44:47], v44 offset0:84 offset1:118
	s_waitcnt lgkmcnt(6)
	v_mul_f32_e32 v50, v25, v31
	s_waitcnt lgkmcnt(5)
	v_mul_f32_e32 v51, v27, v1
	v_mul_f32_e32 v25, v25, v30
	;; [unrolled: 1-line block ×4, first 2 shown]
	v_fmac_f32_e32 v50, v24, v30
	v_fmac_f32_e32 v51, v26, v0
	s_waitcnt lgkmcnt(4)
	v_mul_f32_e32 v0, v13, v34
	v_mul_f32_e32 v53, v21, v2
	;; [unrolled: 1-line block ×3, first 2 shown]
	v_fma_f32 v24, v24, v31, -v25
	v_fma_f32 v25, v26, v1, -v27
	;; [unrolled: 1-line block ×3, first 2 shown]
	s_waitcnt lgkmcnt(3)
	v_mul_f32_e32 v0, v15, v36
	v_add_f32_e32 v1, v28, v50
	v_mul_f32_e32 v54, v23, v33
	v_fmac_f32_e32 v52, v20, v2
	v_fmac_f32_e32 v21, v12, v34
	v_mul_f32_e32 v2, v15, v37
	v_add_f32_e32 v15, v29, v24
	v_fma_f32 v12, v14, v37, -v0
	v_add_f32_e32 v0, v1, v51
	v_mul_f32_e32 v23, v23, v32
	v_fma_f32 v20, v20, v3, -v53
	v_fmac_f32_e32 v54, v22, v32
	v_mul_f32_e32 v3, v5, v39
	v_add_f32_e32 v1, v15, v25
	v_mul_f32_e32 v5, v5, v38
	v_add_f32_e32 v0, v0, v52
	v_fma_f32 v22, v22, v33, -v23
	v_fmac_f32_e32 v2, v14, v36
	v_fmac_f32_e32 v3, v4, v38
	s_waitcnt lgkmcnt(1)
	v_mul_f32_e32 v14, v7, v41
	v_add_f32_e32 v1, v1, v20
	v_fma_f32 v4, v4, v39, -v5
	v_mul_f32_e32 v5, v7, v40
	v_add_f32_e32 v0, v0, v54
	v_fmac_f32_e32 v14, v6, v40
	v_add_f32_e32 v1, v1, v22
	v_mul_f32_e32 v7, v17, v43
	v_fma_f32 v5, v6, v41, -v5
	v_mul_f32_e32 v6, v17, v42
	v_add_f32_e32 v0, v0, v21
	v_add_f32_e32 v1, v1, v13
	v_fmac_f32_e32 v7, v16, v42
	s_waitcnt lgkmcnt(0)
	v_mul_f32_e32 v15, v19, v45
	v_fma_f32 v6, v16, v43, -v6
	v_add_f32_e32 v0, v0, v2
	v_mul_f32_e32 v16, v19, v44
	v_add_f32_e32 v1, v1, v12
	v_fmac_f32_e32 v15, v18, v44
	v_mul_f32_e32 v17, v9, v47
	v_add_f32_e32 v0, v0, v3
	v_fma_f32 v16, v18, v45, -v16
	v_mul_f32_e32 v18, v11, v48
	v_add_f32_e32 v1, v1, v4
	v_mul_f32_e32 v11, v11, v49
	v_add_f32_e32 v0, v0, v14
	v_mul_f32_e32 v9, v9, v46
	v_fma_f32 v18, v10, v49, -v18
	v_add_f32_e32 v1, v1, v5
	v_fmac_f32_e32 v11, v10, v48
	v_add_f32_e32 v0, v0, v7
	v_fmac_f32_e32 v17, v8, v46
	v_sub_f32_e32 v10, v24, v18
	v_add_f32_e32 v1, v1, v6
	v_fma_f32 v8, v8, v47, -v9
	v_add_f32_e32 v0, v0, v15
	v_add_f32_e32 v9, v50, v11
	v_mul_f32_e32 v19, 0xbeedf032, v10
	v_add_f32_e32 v1, v1, v16
	v_add_f32_e32 v23, v24, v18
	;; [unrolled: 1-line block ×3, first 2 shown]
	v_sub_f32_e32 v46, v25, v8
	v_fmamk_f32 v26, v9, 0x3f62ad3f, v19
	v_add_f32_e32 v1, v1, v8
	v_sub_f32_e32 v24, v50, v11
	v_mul_f32_e32 v27, 0x3f62ad3f, v23
	v_add_f32_e32 v0, v0, v11
	v_add_f32_e32 v11, v28, v26
	v_mul_f32_e32 v26, 0xbf52af12, v10
	v_mul_f32_e32 v30, 0x3f116cb1, v23
	;; [unrolled: 1-line block ×10, first 2 shown]
	v_add_f32_e32 v48, v51, v17
	v_mul_f32_e32 v49, 0xbf52af12, v46
	v_add_f32_e32 v8, v25, v8
	v_add_f32_e32 v1, v1, v18
	v_fmamk_f32 v18, v24, 0x3eedf032, v27
	v_fma_f32 v19, 0x3f62ad3f, v9, -v19
	v_fmac_f32_e32 v27, 0xbeedf032, v24
	v_fmamk_f32 v31, v9, 0x3f116cb1, v26
	v_fmamk_f32 v32, v24, 0x3f52af12, v30
	v_fma_f32 v26, 0x3f116cb1, v9, -v26
	v_fmac_f32_e32 v30, 0xbf52af12, v24
	v_fmamk_f32 v34, v9, 0x3df6dbef, v33
	;; [unrolled: 4-line block ×5, first 2 shown]
	v_fmamk_f32 v47, v24, 0x3e750f2a, v23
	v_fma_f32 v9, 0xbf788fa5, v9, -v10
	v_fmac_f32_e32 v23, 0xbe750f2a, v24
	v_sub_f32_e32 v10, v51, v17
	v_fmamk_f32 v17, v48, 0x3f116cb1, v49
	v_mul_f32_e32 v24, 0x3f116cb1, v8
	v_add_f32_e32 v18, v29, v18
	v_add_f32_e32 v19, v28, v19
	;; [unrolled: 1-line block ×24, first 2 shown]
	v_fmamk_f32 v17, v10, 0x3f52af12, v24
	v_mul_f32_e32 v28, 0xbf6f5d39, v46
	v_fma_f32 v29, 0x3f116cb1, v48, -v49
	v_fmac_f32_e32 v24, 0xbf52af12, v10
	v_mul_f32_e32 v47, 0xbeb58ec6, v8
	v_add_f32_e32 v17, v17, v18
	v_fmamk_f32 v18, v48, 0xbeb58ec6, v28
	v_add_f32_e32 v19, v29, v19
	v_add_f32_e32 v24, v24, v27
	v_fmamk_f32 v27, v10, 0x3f6f5d39, v47
	v_mul_f32_e32 v29, 0xbe750f2a, v46
	v_add_f32_e32 v18, v18, v31
	v_fma_f32 v28, 0xbeb58ec6, v48, -v28
	v_fmac_f32_e32 v47, 0xbf6f5d39, v10
	v_add_f32_e32 v27, v27, v32
	v_fmamk_f32 v31, v48, 0xbf788fa5, v29
	v_mul_f32_e32 v32, 0xbf788fa5, v8
	v_add_f32_e32 v26, v28, v26
	v_add_f32_e32 v28, v47, v30
	v_mul_f32_e32 v30, 0x3f29c268, v46
	v_add_f32_e32 v31, v31, v34
	v_fmamk_f32 v34, v10, 0x3e750f2a, v32
	v_fmac_f32_e32 v32, 0xbe750f2a, v10
	v_mul_f32_e32 v49, 0xbf3f9e67, v8
	v_fma_f32 v29, 0xbf788fa5, v48, -v29
	v_fmamk_f32 v47, v48, 0xbf3f9e67, v30
	v_add_f32_e32 v34, v34, v37
	v_add_f32_e32 v32, v32, v35
	v_fmamk_f32 v35, v10, 0xbf29c268, v49
	v_mul_f32_e32 v37, 0x3f7e222b, v46
	v_add_f32_e32 v29, v29, v33
	v_add_f32_e32 v33, v47, v38
	v_fma_f32 v30, 0xbf3f9e67, v48, -v30
	v_mul_f32_e32 v38, 0x3df6dbef, v8
	v_add_f32_e32 v35, v35, v40
	v_fmamk_f32 v40, v48, 0x3df6dbef, v37
	v_mul_f32_e32 v46, 0x3eedf032, v46
	v_fma_f32 v37, 0x3df6dbef, v48, -v37
	v_add_f32_e32 v30, v30, v36
	v_fmamk_f32 v36, v10, 0xbf7e222b, v38
	v_add_f32_e32 v40, v40, v43
	v_fmac_f32_e32 v38, 0x3f7e222b, v10
	v_fmamk_f32 v43, v48, 0x3f62ad3f, v46
	v_add_f32_e32 v37, v37, v41
	v_sub_f32_e32 v41, v20, v16
	v_add_f32_e32 v36, v36, v44
	v_mul_f32_e32 v8, 0x3f62ad3f, v8
	v_add_f32_e32 v38, v38, v42
	v_add_f32_e32 v42, v43, v45
	;; [unrolled: 1-line block ×3, first 2 shown]
	v_mul_f32_e32 v45, 0xbf7e222b, v41
	v_add_f32_e32 v16, v20, v16
	v_fmac_f32_e32 v49, 0x3f29c268, v10
	v_fmamk_f32 v43, v10, 0xbeedf032, v8
	v_fma_f32 v20, 0x3f62ad3f, v48, -v46
	v_fmac_f32_e32 v8, 0x3eedf032, v10
	v_sub_f32_e32 v10, v52, v15
	v_fmamk_f32 v15, v44, 0x3df6dbef, v45
	v_mul_f32_e32 v46, 0x3df6dbef, v16
	v_add_f32_e32 v9, v20, v9
	v_mul_f32_e32 v20, 0xbe750f2a, v41
	v_add_f32_e32 v25, v43, v25
	v_add_f32_e32 v11, v15, v11
	v_fmamk_f32 v15, v10, 0x3f7e222b, v46
	v_add_f32_e32 v8, v8, v23
	v_fma_f32 v23, 0x3df6dbef, v44, -v45
	v_fmac_f32_e32 v46, 0xbf7e222b, v10
	v_mul_f32_e32 v43, 0xbf788fa5, v16
	v_add_f32_e32 v15, v15, v17
	v_fmamk_f32 v17, v44, 0xbf788fa5, v20
	v_add_f32_e32 v19, v23, v19
	v_add_f32_e32 v23, v46, v24
	v_fmamk_f32 v24, v10, 0x3e750f2a, v43
	v_mul_f32_e32 v45, 0x3f6f5d39, v41
	v_add_f32_e32 v17, v17, v18
	v_fma_f32 v18, 0xbf788fa5, v44, -v20
	v_fmac_f32_e32 v43, 0xbe750f2a, v10
	v_add_f32_e32 v20, v24, v27
	v_fmamk_f32 v24, v44, 0xbeb58ec6, v45
	v_mul_f32_e32 v27, 0xbeb58ec6, v16
	v_add_f32_e32 v18, v18, v26
	v_add_f32_e32 v26, v43, v28
	v_mul_f32_e32 v28, 0x3eedf032, v41
	v_add_f32_e32 v24, v24, v31
	v_fmamk_f32 v31, v10, 0xbf6f5d39, v27
	v_fma_f32 v43, 0xbeb58ec6, v44, -v45
	v_fmac_f32_e32 v27, 0x3f6f5d39, v10
	v_fmamk_f32 v45, v44, 0x3f62ad3f, v28
	v_mul_f32_e32 v46, 0x3f62ad3f, v16
	v_add_f32_e32 v31, v31, v34
	v_add_f32_e32 v29, v43, v29
	;; [unrolled: 1-line block ×4, first 2 shown]
	v_fmamk_f32 v33, v10, 0xbeedf032, v46
	v_mul_f32_e32 v34, 0xbf52af12, v41
	v_fma_f32 v28, 0x3f62ad3f, v44, -v28
	v_mul_f32_e32 v43, 0x3f116cb1, v16
	v_mul_f32_e32 v41, 0xbf29c268, v41
	v_add_f32_e32 v33, v33, v35
	v_fmamk_f32 v35, v44, 0x3f116cb1, v34
	v_add_f32_e32 v28, v28, v30
	v_fmamk_f32 v30, v10, 0x3f52af12, v43
	v_fma_f32 v34, 0x3f116cb1, v44, -v34
	v_fmac_f32_e32 v43, 0xbf52af12, v10
	v_mul_f32_e32 v16, 0xbf3f9e67, v16
	v_fmac_f32_e32 v46, 0x3eedf032, v10
	v_add_f32_e32 v30, v30, v36
	v_fmamk_f32 v36, v44, 0xbf3f9e67, v41
	v_add_f32_e32 v34, v34, v37
	v_sub_f32_e32 v37, v22, v6
	v_add_f32_e32 v38, v43, v38
	v_add_f32_e32 v6, v22, v6
	;; [unrolled: 1-line block ×4, first 2 shown]
	v_mul_f32_e32 v43, 0xbf6f5d39, v37
	v_add_f32_e32 v35, v35, v40
	v_fmamk_f32 v40, v10, 0x3f29c268, v16
	v_fma_f32 v22, 0xbf3f9e67, v44, -v41
	v_fmac_f32_e32 v16, 0xbf29c268, v10
	v_sub_f32_e32 v7, v54, v7
	v_fmamk_f32 v10, v42, 0xbeb58ec6, v43
	v_mul_f32_e32 v41, 0xbeb58ec6, v6
	v_add_f32_e32 v25, v40, v25
	v_add_f32_e32 v9, v22, v9
	;; [unrolled: 1-line block ×4, first 2 shown]
	v_fmamk_f32 v11, v7, 0x3f6f5d39, v41
	v_mul_f32_e32 v16, 0x3f29c268, v37
	v_fma_f32 v22, 0xbeb58ec6, v42, -v43
	v_fmac_f32_e32 v41, 0xbf6f5d39, v7
	v_mul_f32_e32 v40, 0xbf3f9e67, v6
	v_add_f32_e32 v11, v11, v15
	v_fmamk_f32 v15, v42, 0xbf3f9e67, v16
	v_add_f32_e32 v19, v22, v19
	v_add_f32_e32 v22, v41, v23
	v_fmamk_f32 v23, v7, 0xbf29c268, v40
	v_mul_f32_e32 v41, 0x3eedf032, v37
	v_fma_f32 v16, 0xbf3f9e67, v42, -v16
	v_fmac_f32_e32 v40, 0x3f29c268, v7
	v_add_f32_e32 v15, v15, v17
	v_add_f32_e32 v17, v23, v20
	v_fmamk_f32 v20, v42, 0x3f62ad3f, v41
	v_mul_f32_e32 v23, 0x3f62ad3f, v6
	v_add_f32_e32 v16, v16, v18
	v_add_f32_e32 v18, v40, v26
	v_mul_f32_e32 v26, 0xbf7e222b, v37
	v_add_f32_e32 v20, v20, v24
	v_fmamk_f32 v24, v7, 0xbeedf032, v23
	v_fma_f32 v40, 0x3f62ad3f, v42, -v41
	v_fmac_f32_e32 v23, 0x3eedf032, v7
	v_fmamk_f32 v41, v42, 0x3df6dbef, v26
	v_mul_f32_e32 v43, 0x3df6dbef, v6
	v_add_f32_e32 v24, v24, v31
	v_add_f32_e32 v29, v40, v29
	;; [unrolled: 1-line block ×4, first 2 shown]
	v_fmamk_f32 v31, v7, 0x3f7e222b, v43
	v_mul_f32_e32 v32, 0x3e750f2a, v37
	v_fma_f32 v26, 0x3df6dbef, v42, -v26
	v_mul_f32_e32 v40, 0xbf788fa5, v6
	v_mul_f32_e32 v37, 0x3f52af12, v37
	v_add_f32_e32 v31, v31, v33
	v_fmamk_f32 v33, v42, 0xbf788fa5, v32
	v_fma_f32 v32, 0xbf788fa5, v42, -v32
	v_add_f32_e32 v26, v26, v28
	v_fmamk_f32 v28, v7, 0xbe750f2a, v40
	v_fmac_f32_e32 v40, 0x3e750f2a, v7
	v_add_f32_e32 v33, v33, v35
	v_add_f32_e32 v32, v32, v34
	v_sub_f32_e32 v34, v13, v5
	v_add_f32_e32 v28, v28, v30
	v_fmamk_f32 v30, v42, 0x3f116cb1, v37
	v_mul_f32_e32 v6, 0x3f116cb1, v6
	v_add_f32_e32 v35, v40, v38
	v_add_f32_e32 v38, v21, v14
	v_mul_f32_e32 v40, 0xbf29c268, v34
	v_add_f32_e32 v5, v13, v5
	v_fmac_f32_e32 v43, 0xbf7e222b, v7
	v_add_f32_e32 v30, v30, v36
	v_fmamk_f32 v36, v7, 0xbf52af12, v6
	v_fma_f32 v13, 0x3f116cb1, v42, -v37
	v_fmac_f32_e32 v6, 0x3f52af12, v7
	v_sub_f32_e32 v7, v21, v14
	v_fmamk_f32 v14, v38, 0xbf3f9e67, v40
	v_mul_f32_e32 v21, 0xbf3f9e67, v5
	v_add_f32_e32 v25, v36, v25
	v_add_f32_e32 v9, v13, v9
	;; [unrolled: 1-line block ×4, first 2 shown]
	v_fmamk_f32 v10, v7, 0x3f29c268, v21
	v_mul_f32_e32 v13, 0x3f7e222b, v34
	v_fma_f32 v14, 0xbf3f9e67, v38, -v40
	v_fmac_f32_e32 v21, 0xbf29c268, v7
	v_mul_f32_e32 v36, 0x3df6dbef, v5
	v_add_f32_e32 v10, v10, v11
	v_fmamk_f32 v11, v38, 0x3df6dbef, v13
	v_add_f32_e32 v14, v14, v19
	v_add_f32_e32 v19, v21, v22
	v_fmamk_f32 v21, v7, 0xbf7e222b, v36
	v_mul_f32_e32 v22, 0xbf52af12, v34
	v_fma_f32 v13, 0x3df6dbef, v38, -v13
	v_fmac_f32_e32 v36, 0x3f7e222b, v7
	v_add_f32_e32 v11, v11, v15
	v_add_f32_e32 v15, v21, v17
	v_fmamk_f32 v17, v38, 0x3f116cb1, v22
	v_mul_f32_e32 v21, 0x3f116cb1, v5
	v_add_f32_e32 v13, v13, v16
	v_add_f32_e32 v16, v36, v18
	v_mul_f32_e32 v18, 0x3e750f2a, v34
	v_add_f32_e32 v39, v49, v39
	v_add_f32_e32 v17, v17, v20
	v_fmamk_f32 v20, v7, 0x3f52af12, v21
	v_fma_f32 v22, 0x3f116cb1, v38, -v22
	v_fmac_f32_e32 v21, 0xbf52af12, v7
	v_fmamk_f32 v36, v38, 0xbf788fa5, v18
	v_mul_f32_e32 v37, 0xbf788fa5, v5
	v_add_f32_e32 v39, v46, v39
	v_add_f32_e32 v20, v20, v24
	;; [unrolled: 1-line block ×5, first 2 shown]
	v_fmamk_f32 v24, v7, 0xbe750f2a, v37
	v_mul_f32_e32 v27, 0x3eedf032, v34
	v_fma_f32 v18, 0xbf788fa5, v38, -v18
	v_mul_f32_e32 v29, 0x3f62ad3f, v5
	v_add_f32_e32 v39, v43, v39
	v_fmac_f32_e32 v37, 0x3e750f2a, v7
	v_add_f32_e32 v24, v24, v31
	v_fmamk_f32 v31, v38, 0x3f62ad3f, v27
	v_add_f32_e32 v18, v18, v26
	v_fmamk_f32 v26, v7, 0xbeedf032, v29
	v_mul_f32_e32 v34, 0xbf6f5d39, v34
	v_fma_f32 v27, 0x3f62ad3f, v38, -v27
	v_add_f32_e32 v36, v37, v39
	v_fmac_f32_e32 v29, 0x3eedf032, v7
	v_add_f32_e32 v26, v26, v28
	v_fmamk_f32 v28, v38, 0xbeb58ec6, v34
	v_mul_f32_e32 v5, 0xbeb58ec6, v5
	v_add_f32_e32 v27, v27, v32
	v_sub_f32_e32 v32, v12, v4
	v_add_f32_e32 v37, v12, v4
	v_add_f32_e32 v31, v31, v33
	;; [unrolled: 1-line block ×4, first 2 shown]
	v_fmamk_f32 v30, v7, 0x3f6f5d39, v5
	v_add_f32_e32 v33, v2, v3
	v_mul_f32_e32 v35, 0xbe750f2a, v32
	v_fma_f32 v4, 0xbeb58ec6, v38, -v34
	v_fmac_f32_e32 v5, 0xbf6f5d39, v7
	v_sub_f32_e32 v34, v2, v3
	v_mul_f32_e32 v7, 0xbf788fa5, v37
	v_fmamk_f32 v2, v33, 0xbf788fa5, v35
	v_add_f32_e32 v25, v30, v25
	v_add_f32_e32 v30, v4, v9
	v_mul_f32_e32 v9, 0x3f62ad3f, v37
	v_fmamk_f32 v3, v34, 0x3e750f2a, v7
	v_fmac_f32_e32 v7, 0xbe750f2a, v34
	v_add_f32_e32 v38, v5, v6
	v_add_f32_e32 v2, v2, v8
	v_mul_f32_e32 v8, 0x3eedf032, v32
	v_fma_f32 v4, 0xbf788fa5, v33, -v35
	v_add_f32_e32 v5, v7, v19
	v_fmamk_f32 v7, v34, 0xbeedf032, v9
	v_mul_f32_e32 v12, 0xbf29c268, v32
	v_add_f32_e32 v3, v3, v10
	v_fmamk_f32 v6, v33, 0x3f62ad3f, v8
	v_add_f32_e32 v4, v4, v14
	v_fmac_f32_e32 v9, 0x3eedf032, v34
	v_add_f32_e32 v7, v7, v15
	v_fmamk_f32 v10, v33, 0xbf3f9e67, v12
	v_mul_f32_e32 v14, 0xbf3f9e67, v37
	v_mul_f32_e32 v15, 0x3f52af12, v32
	v_add_f32_e32 v6, v6, v11
	v_fma_f32 v8, 0x3f62ad3f, v33, -v8
	v_add_f32_e32 v9, v9, v16
	v_add_f32_e32 v10, v10, v17
	v_fmamk_f32 v11, v34, 0x3f29c268, v14
	v_fma_f32 v12, 0xbf3f9e67, v33, -v12
	v_fmac_f32_e32 v14, 0xbf29c268, v34
	v_fmamk_f32 v16, v33, 0x3f116cb1, v15
	v_mul_f32_e32 v17, 0x3f116cb1, v37
	v_mul_f32_e32 v19, 0xbf6f5d39, v32
	v_add_f32_e32 v8, v8, v13
	v_add_f32_e32 v11, v11, v20
	;; [unrolled: 1-line block ×5, first 2 shown]
	v_fmamk_f32 v16, v34, 0xbf52af12, v17
	v_fma_f32 v20, 0x3f116cb1, v33, -v15
	v_mul_f32_e32 v21, 0xbeb58ec6, v37
	v_fmamk_f32 v22, v33, 0xbeb58ec6, v19
	v_fma_f32 v23, 0xbeb58ec6, v33, -v19
	v_add_f32_e32 v15, v16, v24
	v_add_f32_e32 v16, v20, v18
	v_fmamk_f32 v20, v34, 0x3f6f5d39, v21
	v_add_f32_e32 v18, v22, v31
	v_mul_f32_e32 v22, 0x3f7e222b, v32
	v_mul_f32_e32 v31, 0x3df6dbef, v37
	v_fmac_f32_e32 v21, 0xbf6f5d39, v34
	v_add_f32_e32 v19, v20, v26
	v_add_f32_e32 v20, v23, v27
	v_fmamk_f32 v23, v33, 0x3df6dbef, v22
	v_fmamk_f32 v24, v34, 0xbf7e222b, v31
	v_fma_f32 v26, 0x3df6dbef, v33, -v22
	v_fmac_f32_e32 v31, 0x3f7e222b, v34
	v_fmac_f32_e32 v17, 0x3f52af12, v34
	ds_write_b64 v97, v[0:1]
	v_add_nc_u32_e32 v1, 0x400, v97
	v_add_nc_u32_e32 v0, 0x800, v97
	v_add_f32_e32 v22, v23, v28
	v_add_f32_e32 v23, v24, v25
	;; [unrolled: 1-line block ×6, first 2 shown]
	ds_write2_b64 v97, v[2:3], v[6:7] offset0:34 offset1:68
	ds_write2_b64 v97, v[10:11], v[14:15] offset0:102 offset1:136
	;; [unrolled: 1-line block ×6, first 2 shown]
	s_waitcnt lgkmcnt(0)
	s_barrier
	buffer_gl0_inv
	s_and_b32 exec_lo, exec_lo, vcc_lo
	s_cbranch_execz .LBB0_23
; %bb.22:
	global_load_dwordx2 v[2:3], v92, s[12:13]
	ds_read_b64 v[4:5], v97
	s_mov_b32 s0, 0x1288b013
	s_mov_b32 s1, 0x3f6288b0
	v_mad_u64_u32 v[8:9], null, s4, v93, 0
	s_mul_i32 s2, s5, 0xd0
	s_mul_i32 s3, s4, 0xd0
	s_waitcnt vmcnt(0) lgkmcnt(0)
	v_mul_f32_e32 v6, v5, v3
	v_mul_f32_e32 v3, v4, v3
	v_fmac_f32_e32 v6, v4, v2
	v_fma_f32 v4, v2, v5, -v3
	v_cvt_f64_f32_e32 v[2:3], v6
	v_cvt_f64_f32_e32 v[4:5], v4
	v_mad_u64_u32 v[6:7], null, s6, v56, 0
	s_mul_hi_u32 s6, s4, 0xd0
	s_add_i32 s2, s6, s2
	v_mad_u64_u32 v[10:11], null, s7, v56, v[7:8]
	v_mad_u64_u32 v[11:12], null, s5, v93, v[9:10]
	v_mov_b32_e32 v7, v10
	v_mul_f64 v[2:3], v[2:3], s[0:1]
	v_mul_f64 v[4:5], v[4:5], s[0:1]
	v_mov_b32_e32 v9, v11
	v_cvt_f32_f64_e32 v2, v[2:3]
	v_cvt_f32_f64_e32 v3, v[4:5]
	v_lshlrev_b64 v[4:5], 3, v[6:7]
	v_lshlrev_b64 v[6:7], 3, v[8:9]
	v_add_co_u32 v11, vcc_lo, s14, v4
	v_add_co_ci_u32_e32 v12, vcc_lo, s15, v5, vcc_lo
	v_add_co_u32 v6, vcc_lo, v11, v6
	v_add_co_ci_u32_e32 v7, vcc_lo, v12, v7, vcc_lo
	global_store_dwordx2 v[6:7], v[2:3], off
	global_load_dwordx2 v[8:9], v92, s[12:13] offset:208
	ds_read2_b64 v[2:5], v97 offset0:26 offset1:52
	v_add_co_u32 v6, vcc_lo, v6, s3
	v_add_co_ci_u32_e32 v7, vcc_lo, s2, v7, vcc_lo
	s_waitcnt vmcnt(0) lgkmcnt(0)
	v_mul_f32_e32 v10, v3, v9
	v_mul_f32_e32 v9, v2, v9
	v_fmac_f32_e32 v10, v2, v8
	v_fma_f32 v8, v8, v3, -v9
	v_cvt_f64_f32_e32 v[2:3], v10
	v_cvt_f64_f32_e32 v[8:9], v8
	v_mul_f64 v[2:3], v[2:3], s[0:1]
	v_mul_f64 v[8:9], v[8:9], s[0:1]
	v_cvt_f32_f64_e32 v2, v[2:3]
	v_cvt_f32_f64_e32 v3, v[8:9]
	global_store_dwordx2 v[6:7], v[2:3], off
	global_load_dwordx2 v[2:3], v92, s[12:13] offset:416
	v_add_co_u32 v6, vcc_lo, v6, s3
	v_add_co_ci_u32_e32 v7, vcc_lo, s2, v7, vcc_lo
	s_waitcnt vmcnt(0)
	v_mul_f32_e32 v8, v5, v3
	v_mul_f32_e32 v3, v4, v3
	v_fmac_f32_e32 v8, v4, v2
	v_fma_f32 v4, v2, v5, -v3
	v_cvt_f64_f32_e32 v[2:3], v8
	v_cvt_f64_f32_e32 v[4:5], v4
	v_mul_f64 v[2:3], v[2:3], s[0:1]
	v_mul_f64 v[4:5], v[4:5], s[0:1]
	v_cvt_f32_f64_e32 v2, v[2:3]
	v_cvt_f32_f64_e32 v3, v[4:5]
	global_store_dwordx2 v[6:7], v[2:3], off
	global_load_dwordx2 v[8:9], v92, s[12:13] offset:624
	ds_read2_b64 v[2:5], v97 offset0:78 offset1:104
	v_add_co_u32 v6, vcc_lo, v6, s3
	v_add_co_ci_u32_e32 v7, vcc_lo, s2, v7, vcc_lo
	s_waitcnt vmcnt(0) lgkmcnt(0)
	v_mul_f32_e32 v10, v3, v9
	v_mul_f32_e32 v9, v2, v9
	v_fmac_f32_e32 v10, v2, v8
	v_fma_f32 v8, v8, v3, -v9
	v_cvt_f64_f32_e32 v[2:3], v10
	v_cvt_f64_f32_e32 v[8:9], v8
	v_mul_f64 v[2:3], v[2:3], s[0:1]
	v_mul_f64 v[8:9], v[8:9], s[0:1]
	v_cvt_f32_f64_e32 v2, v[2:3]
	v_cvt_f32_f64_e32 v3, v[8:9]
	global_store_dwordx2 v[6:7], v[2:3], off
	global_load_dwordx2 v[2:3], v92, s[12:13] offset:832
	v_add_co_u32 v6, vcc_lo, v6, s3
	v_add_co_ci_u32_e32 v7, vcc_lo, s2, v7, vcc_lo
	s_waitcnt vmcnt(0)
	v_mul_f32_e32 v8, v5, v3
	v_mul_f32_e32 v3, v4, v3
	v_fmac_f32_e32 v8, v4, v2
	v_fma_f32 v4, v2, v5, -v3
	v_cvt_f64_f32_e32 v[2:3], v8
	v_cvt_f64_f32_e32 v[4:5], v4
	v_mul_f64 v[2:3], v[2:3], s[0:1]
	v_mul_f64 v[4:5], v[4:5], s[0:1]
	v_cvt_f32_f64_e32 v2, v[2:3]
	v_cvt_f32_f64_e32 v3, v[4:5]
	;; [unrolled: 31-line block ×3, first 2 shown]
	global_store_dwordx2 v[6:7], v[2:3], off
	global_load_dwordx2 v[8:9], v92, s[12:13] offset:1456
	ds_read2_b64 v[2:5], v97 offset0:182 offset1:208
	v_add_co_u32 v6, vcc_lo, v6, s3
	v_add_co_ci_u32_e32 v7, vcc_lo, s2, v7, vcc_lo
	s_waitcnt vmcnt(0) lgkmcnt(0)
	v_mul_f32_e32 v10, v3, v9
	v_mul_f32_e32 v9, v2, v9
	v_fmac_f32_e32 v10, v2, v8
	v_fma_f32 v8, v8, v3, -v9
	v_cvt_f64_f32_e32 v[2:3], v10
	v_cvt_f64_f32_e32 v[8:9], v8
	v_mul_f64 v[2:3], v[2:3], s[0:1]
	v_mul_f64 v[8:9], v[8:9], s[0:1]
	v_cvt_f32_f64_e32 v2, v[2:3]
	v_cvt_f32_f64_e32 v3, v[8:9]
	global_store_dwordx2 v[6:7], v[2:3], off
	global_load_dwordx2 v[2:3], v92, s[12:13] offset:1664
	s_waitcnt vmcnt(0)
	v_mul_f32_e32 v8, v5, v3
	v_mul_f32_e32 v3, v4, v3
	v_fmac_f32_e32 v8, v4, v2
	v_fma_f32 v4, v2, v5, -v3
	v_cvt_f64_f32_e32 v[2:3], v8
	v_cvt_f64_f32_e32 v[4:5], v4
	v_mul_f64 v[2:3], v[2:3], s[0:1]
	v_mul_f64 v[4:5], v[4:5], s[0:1]
	v_cvt_f32_f64_e32 v2, v[2:3]
	v_cvt_f32_f64_e32 v3, v[4:5]
	v_add_co_u32 v5, vcc_lo, v6, s3
	v_add_co_ci_u32_e32 v6, vcc_lo, s2, v7, vcc_lo
	global_store_dwordx2 v[5:6], v[2:3], off
	global_load_dwordx2 v[7:8], v92, s[12:13] offset:1872
	ds_read2_b64 v[1:4], v1 offset0:106 offset1:132
	v_add_co_u32 v5, vcc_lo, v5, s3
	v_add_co_ci_u32_e32 v6, vcc_lo, s2, v6, vcc_lo
	s_waitcnt vmcnt(0) lgkmcnt(0)
	v_mul_f32_e32 v9, v2, v8
	v_mul_f32_e32 v8, v1, v8
	v_fmac_f32_e32 v9, v1, v7
	v_fma_f32 v7, v7, v2, -v8
	v_cvt_f64_f32_e32 v[1:2], v9
	v_cvt_f64_f32_e32 v[7:8], v7
	v_mul_f64 v[1:2], v[1:2], s[0:1]
	v_mul_f64 v[7:8], v[7:8], s[0:1]
	v_cvt_f32_f64_e32 v1, v[1:2]
	v_cvt_f32_f64_e32 v2, v[7:8]
	v_add_co_u32 v7, s6, s12, v92
	v_add_co_ci_u32_e64 v8, null, s13, 0, s6
	v_add_co_u32 v7, vcc_lo, 0x800, v7
	v_add_co_ci_u32_e32 v8, vcc_lo, 0, v8, vcc_lo
	global_store_dwordx2 v[5:6], v[1:2], off
	global_load_dwordx2 v[1:2], v[7:8], off offset:32
	v_add_co_u32 v5, vcc_lo, v5, s3
	v_add_co_ci_u32_e32 v6, vcc_lo, s2, v6, vcc_lo
	s_waitcnt vmcnt(0)
	v_mul_f32_e32 v9, v4, v2
	v_mul_f32_e32 v2, v3, v2
	v_fmac_f32_e32 v9, v3, v1
	v_fma_f32 v3, v1, v4, -v2
	v_cvt_f64_f32_e32 v[1:2], v9
	v_cvt_f64_f32_e32 v[3:4], v3
	v_mul_f64 v[1:2], v[1:2], s[0:1]
	v_mul_f64 v[3:4], v[3:4], s[0:1]
	v_cvt_f32_f64_e32 v1, v[1:2]
	v_cvt_f32_f64_e32 v2, v[3:4]
	global_store_dwordx2 v[5:6], v[1:2], off
	global_load_dwordx2 v[9:10], v[7:8], off offset:240
	ds_read2_b64 v[1:4], v0 offset0:30 offset1:56
	v_add_co_u32 v5, vcc_lo, v5, s3
	v_add_co_ci_u32_e32 v6, vcc_lo, s2, v6, vcc_lo
	s_waitcnt vmcnt(0) lgkmcnt(0)
	v_mul_f32_e32 v13, v2, v10
	v_mul_f32_e32 v10, v1, v10
	v_fmac_f32_e32 v13, v1, v9
	v_fma_f32 v9, v9, v2, -v10
	v_cvt_f64_f32_e32 v[1:2], v13
	v_cvt_f64_f32_e32 v[9:10], v9
	v_mul_f64 v[1:2], v[1:2], s[0:1]
	v_mul_f64 v[9:10], v[9:10], s[0:1]
	v_cvt_f32_f64_e32 v1, v[1:2]
	v_cvt_f32_f64_e32 v2, v[9:10]
	global_store_dwordx2 v[5:6], v[1:2], off
	global_load_dwordx2 v[1:2], v[7:8], off offset:448
	v_add_co_u32 v5, vcc_lo, v5, s3
	v_add_co_ci_u32_e32 v6, vcc_lo, s2, v6, vcc_lo
	s_waitcnt vmcnt(0)
	v_mul_f32_e32 v9, v4, v2
	v_mul_f32_e32 v2, v3, v2
	v_fmac_f32_e32 v9, v3, v1
	v_fma_f32 v3, v1, v4, -v2
	v_cvt_f64_f32_e32 v[1:2], v9
	v_cvt_f64_f32_e32 v[3:4], v3
	v_mul_f64 v[1:2], v[1:2], s[0:1]
	v_mul_f64 v[3:4], v[3:4], s[0:1]
	v_cvt_f32_f64_e32 v1, v[1:2]
	v_cvt_f32_f64_e32 v2, v[3:4]
	global_store_dwordx2 v[5:6], v[1:2], off
	global_load_dwordx2 v[9:10], v[7:8], off offset:656
	ds_read2_b64 v[1:4], v0 offset0:82 offset1:108
	v_add_co_u32 v5, vcc_lo, v5, s3
	v_add_co_ci_u32_e32 v6, vcc_lo, s2, v6, vcc_lo
	s_waitcnt vmcnt(0) lgkmcnt(0)
	v_mul_f32_e32 v13, v2, v10
	v_mul_f32_e32 v10, v1, v10
	v_fmac_f32_e32 v13, v1, v9
	v_fma_f32 v9, v9, v2, -v10
	v_cvt_f64_f32_e32 v[1:2], v13
	v_cvt_f64_f32_e32 v[9:10], v9
	v_mul_f64 v[1:2], v[1:2], s[0:1]
	v_mul_f64 v[9:10], v[9:10], s[0:1]
	v_cvt_f32_f64_e32 v1, v[1:2]
	v_cvt_f32_f64_e32 v2, v[9:10]
	global_store_dwordx2 v[5:6], v[1:2], off
	global_load_dwordx2 v[1:2], v[7:8], off offset:864
	s_waitcnt vmcnt(0)
	v_mul_f32_e32 v9, v4, v2
	v_mul_f32_e32 v2, v3, v2
	v_fmac_f32_e32 v9, v3, v1
	v_fma_f32 v3, v1, v4, -v2
	v_cvt_f64_f32_e32 v[1:2], v9
	v_cvt_f64_f32_e32 v[3:4], v3
	v_mul_f64 v[1:2], v[1:2], s[0:1]
	v_mul_f64 v[3:4], v[3:4], s[0:1]
	v_cvt_f32_f64_e32 v1, v[1:2]
	v_cvt_f32_f64_e32 v2, v[3:4]
	v_add_co_u32 v4, vcc_lo, v5, s3
	v_add_co_ci_u32_e32 v5, vcc_lo, s2, v6, vcc_lo
	global_store_dwordx2 v[4:5], v[1:2], off
	global_load_dwordx2 v[6:7], v[7:8], off offset:1072
	ds_read2_b64 v[0:3], v0 offset0:134 offset1:160
	v_add_co_u32 v4, vcc_lo, v4, s3
	v_add_co_ci_u32_e32 v5, vcc_lo, s2, v5, vcc_lo
	s_waitcnt vmcnt(0) lgkmcnt(0)
	v_mul_f32_e32 v8, v1, v7
	v_mul_f32_e32 v7, v0, v7
	v_fmac_f32_e32 v8, v0, v6
	v_fma_f32 v6, v6, v1, -v7
	v_cvt_f64_f32_e32 v[0:1], v8
	v_cvt_f64_f32_e32 v[6:7], v6
	v_mul_f64 v[0:1], v[0:1], s[0:1]
	v_mul_f64 v[6:7], v[6:7], s[0:1]
	v_cvt_f32_f64_e32 v0, v[0:1]
	v_cvt_f32_f64_e32 v1, v[6:7]
	v_lshlrev_b32_e32 v6, 3, v91
	global_store_dwordx2 v[4:5], v[0:1], off
	global_load_dwordx2 v[0:1], v6, s[12:13]
	s_waitcnt vmcnt(0)
	v_mul_f32_e32 v4, v3, v1
	v_mul_f32_e32 v1, v2, v1
	v_fmac_f32_e32 v4, v2, v0
	v_fma_f32 v2, v0, v3, -v1
	v_cvt_f64_f32_e32 v[0:1], v4
	v_cvt_f64_f32_e32 v[2:3], v2
	v_mad_u64_u32 v[4:5], null, s4, v91, 0
	v_mad_u64_u32 v[5:6], null, s5, v91, v[5:6]
	v_mul_f64 v[0:1], v[0:1], s[0:1]
	v_mul_f64 v[2:3], v[2:3], s[0:1]
	v_cvt_f32_f64_e32 v0, v[0:1]
	v_cvt_f32_f64_e32 v1, v[2:3]
	v_lshlrev_b64 v[2:3], 3, v[4:5]
	v_add_co_u32 v2, vcc_lo, v11, v2
	v_add_co_ci_u32_e32 v3, vcc_lo, v12, v3, vcc_lo
	global_store_dwordx2 v[2:3], v[0:1], off
.LBB0_23:
	s_endpgm
	.section	.rodata,"a",@progbits
	.p2align	6, 0x0
	.amdhsa_kernel bluestein_single_back_len442_dim1_sp_op_CI_CI
		.amdhsa_group_segment_fixed_size 24752
		.amdhsa_private_segment_fixed_size 0
		.amdhsa_kernarg_size 104
		.amdhsa_user_sgpr_count 6
		.amdhsa_user_sgpr_private_segment_buffer 1
		.amdhsa_user_sgpr_dispatch_ptr 0
		.amdhsa_user_sgpr_queue_ptr 0
		.amdhsa_user_sgpr_kernarg_segment_ptr 1
		.amdhsa_user_sgpr_dispatch_id 0
		.amdhsa_user_sgpr_flat_scratch_init 0
		.amdhsa_user_sgpr_private_segment_size 0
		.amdhsa_wavefront_size32 1
		.amdhsa_uses_dynamic_stack 0
		.amdhsa_system_sgpr_private_segment_wavefront_offset 0
		.amdhsa_system_sgpr_workgroup_id_x 1
		.amdhsa_system_sgpr_workgroup_id_y 0
		.amdhsa_system_sgpr_workgroup_id_z 0
		.amdhsa_system_sgpr_workgroup_info 0
		.amdhsa_system_vgpr_workitem_id 0
		.amdhsa_next_free_vgpr 225
		.amdhsa_next_free_sgpr 16
		.amdhsa_reserve_vcc 1
		.amdhsa_reserve_flat_scratch 0
		.amdhsa_float_round_mode_32 0
		.amdhsa_float_round_mode_16_64 0
		.amdhsa_float_denorm_mode_32 3
		.amdhsa_float_denorm_mode_16_64 3
		.amdhsa_dx10_clamp 1
		.amdhsa_ieee_mode 1
		.amdhsa_fp16_overflow 0
		.amdhsa_workgroup_processor_mode 1
		.amdhsa_memory_ordered 1
		.amdhsa_forward_progress 0
		.amdhsa_shared_vgpr_count 0
		.amdhsa_exception_fp_ieee_invalid_op 0
		.amdhsa_exception_fp_denorm_src 0
		.amdhsa_exception_fp_ieee_div_zero 0
		.amdhsa_exception_fp_ieee_overflow 0
		.amdhsa_exception_fp_ieee_underflow 0
		.amdhsa_exception_fp_ieee_inexact 0
		.amdhsa_exception_int_div_zero 0
	.end_amdhsa_kernel
	.text
.Lfunc_end0:
	.size	bluestein_single_back_len442_dim1_sp_op_CI_CI, .Lfunc_end0-bluestein_single_back_len442_dim1_sp_op_CI_CI
                                        ; -- End function
	.section	.AMDGPU.csdata,"",@progbits
; Kernel info:
; codeLenInByte = 22248
; NumSgprs: 18
; NumVgprs: 225
; ScratchSize: 0
; MemoryBound: 0
; FloatMode: 240
; IeeeMode: 1
; LDSByteSize: 24752 bytes/workgroup (compile time only)
; SGPRBlocks: 2
; VGPRBlocks: 28
; NumSGPRsForWavesPerEU: 18
; NumVGPRsForWavesPerEU: 225
; Occupancy: 4
; WaveLimiterHint : 1
; COMPUTE_PGM_RSRC2:SCRATCH_EN: 0
; COMPUTE_PGM_RSRC2:USER_SGPR: 6
; COMPUTE_PGM_RSRC2:TRAP_HANDLER: 0
; COMPUTE_PGM_RSRC2:TGID_X_EN: 1
; COMPUTE_PGM_RSRC2:TGID_Y_EN: 0
; COMPUTE_PGM_RSRC2:TGID_Z_EN: 0
; COMPUTE_PGM_RSRC2:TIDIG_COMP_CNT: 0
	.text
	.p2alignl 6, 3214868480
	.fill 48, 4, 3214868480
	.type	__hip_cuid_97b771907daff2f5,@object ; @__hip_cuid_97b771907daff2f5
	.section	.bss,"aw",@nobits
	.globl	__hip_cuid_97b771907daff2f5
__hip_cuid_97b771907daff2f5:
	.byte	0                               ; 0x0
	.size	__hip_cuid_97b771907daff2f5, 1

	.ident	"AMD clang version 19.0.0git (https://github.com/RadeonOpenCompute/llvm-project roc-6.4.0 25133 c7fe45cf4b819c5991fe208aaa96edf142730f1d)"
	.section	".note.GNU-stack","",@progbits
	.addrsig
	.addrsig_sym __hip_cuid_97b771907daff2f5
	.amdgpu_metadata
---
amdhsa.kernels:
  - .args:
      - .actual_access:  read_only
        .address_space:  global
        .offset:         0
        .size:           8
        .value_kind:     global_buffer
      - .actual_access:  read_only
        .address_space:  global
        .offset:         8
        .size:           8
        .value_kind:     global_buffer
      - .actual_access:  read_only
        .address_space:  global
        .offset:         16
        .size:           8
        .value_kind:     global_buffer
      - .actual_access:  read_only
        .address_space:  global
        .offset:         24
        .size:           8
        .value_kind:     global_buffer
      - .actual_access:  read_only
        .address_space:  global
        .offset:         32
        .size:           8
        .value_kind:     global_buffer
      - .offset:         40
        .size:           8
        .value_kind:     by_value
      - .address_space:  global
        .offset:         48
        .size:           8
        .value_kind:     global_buffer
      - .address_space:  global
        .offset:         56
        .size:           8
        .value_kind:     global_buffer
      - .address_space:  global
        .offset:         64
        .size:           8
        .value_kind:     global_buffer
      - .address_space:  global
        .offset:         72
        .size:           8
        .value_kind:     global_buffer
      - .offset:         80
        .size:           4
        .value_kind:     by_value
      - .address_space:  global
        .offset:         88
        .size:           8
        .value_kind:     global_buffer
      - .address_space:  global
        .offset:         96
        .size:           8
        .value_kind:     global_buffer
    .group_segment_fixed_size: 24752
    .kernarg_segment_align: 8
    .kernarg_segment_size: 104
    .language:       OpenCL C
    .language_version:
      - 2
      - 0
    .max_flat_workgroup_size: 238
    .name:           bluestein_single_back_len442_dim1_sp_op_CI_CI
    .private_segment_fixed_size: 0
    .sgpr_count:     18
    .sgpr_spill_count: 0
    .symbol:         bluestein_single_back_len442_dim1_sp_op_CI_CI.kd
    .uniform_work_group_size: 1
    .uses_dynamic_stack: false
    .vgpr_count:     225
    .vgpr_spill_count: 0
    .wavefront_size: 32
    .workgroup_processor_mode: 1
amdhsa.target:   amdgcn-amd-amdhsa--gfx1030
amdhsa.version:
  - 1
  - 2
...

	.end_amdgpu_metadata
